;; amdgpu-corpus repo=ROCm/aiter kind=harvested arch=n/a opt=n/a

/root/src/amdgpu-assembly/repos/ROCm__aiter/hsa/gfx942/fmha_v3_bwd/bwd_hd128_bf16_a32_rtne_psskddv.co:	file format elf64-amdgpu

Disassembly of section .text:

0000000000003e00 <_ZN5aiter36fmha_bwd_hd128_bf16_a32_rtne_psskddvE>:
	s_and_b32 s1, s1, 0xffff                                   // 000000003E00: 8601FF01 0000FFFF
	s_load_dwordx2 s[32:33], s[0:1], 0x0                       // 000000003E08: C0060800 00000000
	s_load_dwordx2 s[36:37], s[0:1], 0x10                      // 000000003E10: C0060900 00000010
	s_load_dwordx2 s[40:41], s[0:1], 0x20                      // 000000003E18: C0060A00 00000020
	s_load_dwordx2 s[8:9], s[0:1], 0x30                        // 000000003E20: C0060200 00000030
	s_load_dwordx2 s[12:13], s[0:1], 0x40                      // 000000003E28: C0060300 00000040
	s_load_dwordx2 s[16:17], s[0:1], 0x50                      // 000000003E30: C0060400 00000050
	s_load_dwordx2 s[20:21], s[0:1], 0x60                      // 000000003E38: C0060500 00000060
	s_load_dwordx2 s[24:25], s[0:1], 0x70                      // 000000003E40: C0060600 00000070
	s_load_dwordx2 s[28:29], s[0:1], 0x80                      // 000000003E48: C0060700 00000080
	s_load_dword s47, s[0:1], 0x90                             // 000000003E50: C0020BC0 00000090
	s_load_dword s48, s[0:1], 0xa0                             // 000000003E58: C0020C00 000000A0
	s_load_dword s49, s[0:1], 0xb0                             // 000000003E60: C0020C40 000000B0
	s_load_dword s74, s[0:1], 0xd0                             // 000000003E68: C0021280 000000D0
	s_load_dword s75, s[0:1], 0xe0                             // 000000003E70: C00212C0 000000E0
	s_load_dword s5, s[0:1], 0xf0                              // 000000003E78: C0020140 000000F0
	s_load_dword s44, s[0:1], 0x100                            // 000000003E80: C0020B00 00000100
	s_load_dword s76, s[0:1], 0x110                            // 000000003E88: C0021300 00000110
	s_load_dword s77, s[0:1], 0x120                            // 000000003E90: C0021340 00000120
	s_load_dword s6, s[0:1], 0x130                             // 000000003E98: C0020180 00000130
	s_load_dword s52, s[0:1], 0x140                            // 000000003EA0: C0020D00 00000140
	s_load_dword s50, s[0:1], 0x150                            // 000000003EA8: C0020C80 00000150
	s_load_dword s96, s[0:1], 0x160                            // 000000003EB0: C0021800 00000160
	s_load_dword s98, s[0:1], 0x180                            // 000000003EB8: C0021880 00000180
	s_load_dword s86, s[0:1], 0x190                            // 000000003EC0: C0021580 00000190
	s_load_dword s87, s[0:1], 0x1a0                            // 000000003EC8: C00215C0 000001A0
	s_load_dword s7, s[0:1], 0x1b0                             // 000000003ED0: C00201C0 000001B0
	s_load_dword s88, s[0:1], 0x1c0                            // 000000003ED8: C0021600 000001C0
	s_load_dword s89, s[0:1], 0x1d0                            // 000000003EE0: C0021640 000001D0
	s_load_dword s51, s[0:1], 0x1e0                            // 000000003EE8: C0020CC0 000001E0
	s_load_dword s90, s[0:1], 0x1f0                            // 000000003EF0: C0021680 000001F0
	s_load_dword s91, s[0:1], 0x200                            // 000000003EF8: C00216C0 00000200
	s_load_dword s92, s[0:1], 0x210                            // 000000003F00: C0021700 00000210
	s_load_dword s93, s[0:1], 0x220                            // 000000003F08: C0021740 00000220
	s_load_dword s53, s[0:1], 0x230                            // 000000003F10: C0020D40 00000230
	v_lshrrev_b32_e32 v1, 10, v0                               // 000000003F18: 2002008A
	v_lshrrev_b32_e32 v2, 10, v1                               // 000000003F1C: 2004028A
	v_and_b32_e32 v2, 0x3ff, v2                                // 000000003F20: 260404FF 000003FF
	v_and_b32_e32 v1, 0x3ff, v1                                // 000000003F28: 260202FF 000003FF
	v_and_b32_e32 v0, 0x3ff, v0                                // 000000003F30: 260000FF 000003FF
	v_lshrrev_b32_e32 v3, 6, v0                                // 000000003F38: 20060086
	v_and_b32_e32 v0, 63, v0                                   // 000000003F3C: 260000BF
	s_mov_b32 s2, s2                                           // 000000003F40: BE820002
	s_mov_b32 s3, s3                                           // 000000003F44: BE830003
	s_mov_b32 s4, s4                                           // 000000003F48: BE840004
	v_readfirstlane_b32 s46, v3                                // 000000003F4C: 7E5C0503
	s_waitcnt lgkmcnt(0)                                       // 000000003F50: BF8CC07F
	s_mov_b32 s11, 0x20000                                     // 000000003F54: BE8B00FF 00020000
	s_mov_b32 s15, 0x20000                                     // 000000003F5C: BE8F00FF 00020000
	s_mov_b32 s19, 0x20000                                     // 000000003F64: BE9300FF 00020000
	s_mov_b32 s23, 0x20000                                     // 000000003F6C: BE9700FF 00020000
	s_mov_b32 s27, 0x20000                                     // 000000003F74: BE9B00FF 00020000
	s_mov_b32 s31, 0x20000                                     // 000000003F7C: BE9F00FF 00020000
	s_mov_b32 s35, 0x20000                                     // 000000003F84: BEA300FF 00020000
	s_mov_b32 s39, 0x20000                                     // 000000003F8C: BEA700FF 00020000
	s_mov_b32 s43, 0x20000                                     // 000000003F94: BEAB00FF 00020000
	s_and_b32 s9, s9, 0xffff                                   // 000000003F9C: 8609FF09 0000FFFF
	s_and_b32 s13, s13, 0xffff                                 // 000000003FA4: 860DFF0D 0000FFFF
	s_and_b32 s17, s17, 0xffff                                 // 000000003FAC: 8611FF11 0000FFFF
	s_and_b32 s21, s21, 0xffff                                 // 000000003FB4: 8615FF15 0000FFFF
	s_and_b32 s25, s25, 0xffff                                 // 000000003FBC: 8619FF19 0000FFFF
	s_and_b32 s29, s29, 0xffff                                 // 000000003FC4: 861DFF1D 0000FFFF
	s_and_b32 s33, s33, 0xffff                                 // 000000003FCC: 8621FF21 0000FFFF
	s_and_b32 s37, s37, 0xffff                                 // 000000003FD4: 8625FF25 0000FFFF
	s_and_b32 s41, s41, 0xffff                                 // 000000003FDC: 8629FF29 0000FFFF
	s_or_b32 s9, s9, 0x40000                                   // 000000003FE4: 8709FF09 00040000
	s_or_b32 s13, s13, 0x40000                                 // 000000003FEC: 870DFF0D 00040000
	s_or_b32 s17, s17, 0x40000                                 // 000000003FF4: 8711FF11 00040000
	s_or_b32 s21, s21, 0x40000                                 // 000000003FFC: 8715FF15 00040000
	s_or_b32 s25, s25, 0x40000                                 // 000000004004: 8719FF19 00040000
	s_or_b32 s29, s29, 0x40000                                 // 00000000400C: 871DFF1D 00040000
	s_or_b32 s33, s33, 0x40000                                 // 000000004014: 8721FF21 00040000
	s_or_b32 s37, s37, 0x40000                                 // 00000000401C: 8725FF25 00040000
	s_or_b32 s41, s41, 0x40000                                 // 000000004024: 8729FF29 00040000
	v_accvgpr_write_b32 a255, 0                                // 00000000402C: D3D940FF 18000080
	v_mov_b32_e32 v255, 0                                      // 000000004034: 7FFE0280
	s_mov_b32 s78, s8                                          // 000000004038: BECE0008
	s_mov_b32 s80, s12                                         // 00000000403C: BED0000C
	s_mov_b32 s82, s16                                         // 000000004040: BED20010
	s_mov_b32 s84, s20                                         // 000000004044: BED40014
	s_mov_b32 s79, s9                                          // 000000004048: BECF0009
	s_mov_b32 s81, s13                                         // 00000000404C: BED1000D
	s_mov_b32 s83, s17                                         // 000000004050: BED30011
	s_mov_b32 s85, s21                                         // 000000004054: BED50015
	s_mov_b32 s71, s3                                          // 000000004058: BEC70003
	v_cvt_f32_u32_e32 v28, s44                                 // 00000000405C: 7E380C2C
	s_sub_i32 s60, 0, s44                                      // 000000004060: 81BC2C80
	v_rcp_iflag_f32_e32 v28, v28                               // 000000004064: 7E38471C
	s_nop 0                                                    // 000000004068: BF800000
	v_mul_f32_e32 v28, 0x4f7ffffe, v28                         // 00000000406C: 0A3838FF 4F7FFFFE
	v_cvt_u32_f32_e32 v28, v28                                 // 000000004074: 7E380F1C
	v_mul_lo_u32 v29, s60, v28                                 // 000000004078: D285001D 0002383C
	v_mul_hi_u32 v29, v28, v29                                 // 000000004080: D286001D 00023B1C
	v_add_u32_e32 v28, v28, v29                                // 000000004088: 68383B1C
	v_mul_hi_u32 v28, s71, v28                                 // 00000000408C: D286001C 00023847
	v_mul_lo_u32 v29, v28, s44                                 // 000000004094: D285001D 0000591C
	v_sub_u32_e32 v31, s71, v29                                // 00000000409C: 6A3E3A47
	v_add_u32_e32 v30, 1, v28                                  // 0000000040A0: 683C3881
	v_cmp_le_u32_e32 vcc, s44, v31                             // 0000000040A4: 7D963E2C
	v_subrev_u32_e32 v29, s44, v31                             // 0000000040A8: 6C3A3E2C
	s_nop 0                                                    // 0000000040AC: BF800000
	v_cndmask_b32_e32 v28, v28, v30, vcc                       // 0000000040B0: 00383D1C
	v_cndmask_b32_e32 v31, v31, v29, vcc                       // 0000000040B4: 003E3B1F
	v_add_u32_e32 v29, 1, v28                                  // 0000000040B8: 683A3881
	v_cmp_le_u32_e32 vcc, s44, v31                             // 0000000040BC: 7D963E2C
	s_nop 1                                                    // 0000000040C0: BF800001
	v_cndmask_b32_e32 v31, v28, v29, vcc                       // 0000000040C4: 003E3B1C
	s_nop 3                                                    // 0000000040C8: BF800003
	v_readfirstlane_b32 s45, v31                               // 0000000040CC: 7E5A051F
	s_nop 3                                                    // 0000000040D0: BF800003
	v_mov_b32_e32 v28, s47                                     // 0000000040D4: 7E38022F
	v_mul_f32_e32 v28, s48, v28                                // 0000000040D8: 0A383830
	s_mov_b32 s66, 0                                           // 0000000040DC: BEC20080
	s_mov_b32 s58, s49                                         // 0000000040E0: BEBA0031
	s_mov_b32 s59, 0                                           // 0000000040E4: BEBB0080
	s_mov_b32 s63, 0x5040100                                   // 0000000040E8: BEBF00FF 05040100
	s_mov_b32 s64, 0x7060302                                   // 0000000040F0: BEC000FF 07060302
	v_readfirstlane_b32 s57, v28                               // 0000000040F8: 7E72051C
	v_mov_b32_e32 v30, 0x3020706                               // 0000000040FC: 7E3C02FF 03020706
	v_mov_b32_e32 v28, s63                                     // 000000004104: 7E38023F
	v_and_b32_e32 v29, 1, v0                                   // 000000004108: 263A0081
	v_cmp_eq_u32_e32 vcc, 1, v29                               // 00000000410C: 7D943A81
	s_mul_i32 s60, s96, 64                                     // 000000004110: 923CC060
	s_mov_b32 s67, s60                                         // 000000004114: BEC3003C
	v_cndmask_b32_e32 v15, v28, v30, vcc                       // 000000004118: 001E3D1C
	v_mov_b32_e32 v151, 0xff800000                             // 00000000411C: 7F2E02FF FF800000
	s_mul_i32 s68, 4, s5                                       // 000000004124: 92440584
	s_mul_i32 s97, 4, s51                                      // 000000004128: 92613384
	s_mov_b32 s69, 16                                          // 00000000412C: BEC50090
	s_mul_i32 s60, s6, 0xc0                                    // 000000004130: 923CFF06 000000C0
	s_mul_i32 s60, s2, s60                                     // 000000004138: 923C3C02
	s_mul_i32 s61, s45, s76                                    // 00000000413C: 923D4C2D
	s_add_u32 s54, s60, s61                                    // 000000004140: 80363D3C
	s_mul_i32 s60, s2, 0xc0                                    // 000000004144: 923CFF02 000000C0
	s_sub_i32 s60, s50, s60                                    // 00000000414C: 81BC3C32
	s_mul_i32 s60, s6, s60                                     // 000000004150: 923C3C06
	s_lshr_b32 s60, s60, 2                                     // 000000004154: 8F3C823C
	s_mov_b32 s14, s60                                         // 000000004158: BE8E003C
	s_add_u32 s12, s54, s80                                    // 00000000415C: 800C5036
	s_addc_u32 s13, 0, s81                                     // 000000004160: 820D5180
	s_mul_i32 s60, s4, s77                                     // 000000004164: 923C4D04
	s_mul_hi_u32 s61, s4, s77                                  // 000000004168: 963D4D04
	s_and_b32 s61, s61, 0xffff                                 // 00000000416C: 863DFF3D 0000FFFF
	s_add_u32 s12, s12, s60                                    // 000000004174: 800C3C0C
	s_addc_u32 s13, s13, s61                                   // 000000004178: 820D3D0D
	s_mul_i32 s60, s7, 0xc0                                    // 00000000417C: 923CFF07 000000C0
	s_mul_i32 s60, s2, s60                                     // 000000004184: 923C3C02
	s_mul_i32 s61, s45, s86                                    // 000000004188: 923D562D
	s_add_u32 s54, s60, s61                                    // 00000000418C: 80363D3C
	s_mul_i32 s60, s2, 0xc0                                    // 000000004190: 923CFF02 000000C0
	s_sub_i32 s60, s50, s60                                    // 000000004198: 81BC3C32
	s_mul_i32 s60, s7, s60                                     // 00000000419C: 923C3C07
	s_lshr_b32 s60, s60, 2                                     // 0000000041A0: 8F3C823C
	s_mov_b32 s18, s60                                         // 0000000041A4: BE92003C
	s_add_u32 s16, s54, s82                                    // 0000000041A8: 80105236
	s_addc_u32 s17, 0, s83                                     // 0000000041AC: 82115380
	s_mul_i32 s60, s4, s87                                     // 0000000041B0: 923C5704
	s_mul_hi_u32 s61, s4, s87                                  // 0000000041B4: 963D5704
	s_and_b32 s61, s61, 0xffff                                 // 0000000041B8: 863DFF3D 0000FFFF
	s_add_u32 s16, s16, s60                                    // 0000000041C0: 80103C10
	s_addc_u32 s17, s17, s61                                   // 0000000041C4: 82113D11
	s_mul_i32 s61, s3, s74                                     // 0000000041C8: 923D4A03
	s_mul_i32 s60, s5, s49                                     // 0000000041CC: 923C3105
	s_lshr_b32 s60, s60, 2                                     // 0000000041D0: 8F3C823C
	s_mov_b32 s10, s60                                         // 0000000041D4: BE8A003C
	s_add_u32 s8, s61, s78                                     // 0000000041D8: 80084E3D
	s_addc_u32 s9, 0, s79                                      // 0000000041DC: 82094F80
	s_mul_i32 s60, s4, s75                                     // 0000000041E0: 923C4B04
	s_mul_hi_u32 s61, s4, s75                                  // 0000000041E4: 963D4B04
	s_and_b32 s61, s61, 0xffff                                 // 0000000041E8: 863DFF3D 0000FFFF
	s_add_u32 s8, s8, s60                                      // 0000000041F0: 80083C08
	s_addc_u32 s9, s9, s61                                     // 0000000041F4: 82093D09
	s_mul_i32 s61, s3, s88                                     // 0000000041F8: 923D5803
	s_mul_i32 s60, s51, s49                                    // 0000000041FC: 923C3133
	s_lshr_b32 s60, s60, 2                                     // 000000004200: 8F3C823C
	s_mov_b32 s22, s60                                         // 000000004204: BE96003C
	s_add_u32 s20, s61, s84                                    // 000000004208: 8014543D
	s_addc_u32 s21, 0, s85                                     // 00000000420C: 82155580
	s_mul_i32 s60, s4, s89                                     // 000000004210: 923C5904
	s_mul_hi_u32 s61, s4, s89                                  // 000000004214: 963D5904
	s_and_b32 s61, s61, 0xffff                                 // 000000004218: 863DFF3D 0000FFFF
	s_add_u32 s20, s20, s60                                    // 000000004220: 80143C14
	s_addc_u32 s21, s21, s61                                   // 000000004224: 82153D15
	s_mul_i32 s62, s4, s98                                     // 000000004228: 923E6204
	s_mul_i32 s62, s62, s49                                    // 00000000422C: 923E313E
	s_lshl_b32 s62, s62, 2                                     // 000000004230: 8E3E823E
	s_mul_i32 s61, s3, s49                                     // 000000004234: 923D3103
	s_mul_i32 s61, 4, s61                                      // 000000004238: 923D3D84
	s_add_u32 s65, s61, s62                                    // 00000000423C: 80413E3D
	s_mul_i32 s60, 4, s49                                      // 000000004240: 923C3184
	s_add_u32 s60, s60, s61                                    // 000000004244: 803C3D3C
	s_add_u32 s60, s60, s62                                    // 000000004248: 803C3E3C
	s_lshr_b32 s60, s60, 2                                     // 00000000424C: 8F3C823C
	s_mov_b32 s26, s60                                         // 000000004250: BE9A003C
	s_mov_b32 s30, s60                                         // 000000004254: BE9E003C
	s_cmp_lt_u32 s46, 2                                        // 000000004258: BF0A822E
	s_cselect_b32 s24, s24, s28                                // 00000000425C: 85181C18
	s_cselect_b32 s25, s25, s29                                // 000000004260: 85191D19
	s_cselect_b32 s26, s26, s30                                // 000000004264: 851A1E1A
	s_cselect_b32 s27, s27, s31                                // 000000004268: 851B1F1B
	s_mov_b32 s71, s6                                          // 00000000426C: BEC70006
	v_lshrrev_b32_e32 v28, 4, v0                               // 000000004270: 20380084
	v_and_b32_e32 v29, 1, v28                                  // 000000004274: 263A3881
	v_lshlrev_b32_e32 v29, 1, v29                              // 000000004278: 243A3A81
	v_mul_i32_i24_e32 v29, s71, v29                            // 00000000427C: 0C3A3A47
	v_and_b32_e32 v30, 2, v28                                  // 000000004280: 263C3882
	v_lshlrev_b32_e32 v30, 5, v30                              // 000000004284: 243C3C85
	v_add_u32_e32 v29, v30, v29                                // 000000004288: 683A3B1E
	v_and_b32_e32 v28, 15, v0                                  // 00000000428C: 2638008F
	v_lshlrev_b32_e32 v28, 2, v28                              // 000000004290: 24383882
	v_add_u32_e32 v1, v28, v29                                 // 000000004294: 68023B1C
	s_and_b32 s60, 1, s46                                      // 000000004298: 863C2E81
	s_mul_i32 s60, s60, s71                                    // 00000000429C: 923C473C
	s_mul_i32 s60, s60, 8                                      // 0000000042A0: 923C883C
	s_lshr_b32 s61, s46, 1                                     // 0000000042A4: 8F3D812E
	s_mul_i32 s61, s61, 0x80                                   // 0000000042A8: 923DFF3D 00000080
	s_add_u32 s60, s60, s61                                    // 0000000042B0: 803C3D3C
	v_add_u32_e32 v1, s60, v1                                  // 0000000042B4: 6802023C
	v_add_u32_e32 v2, s71, v1                                  // 0000000042B8: 68040247
	s_mul_i32 s60, 4, s71                                      // 0000000042BC: 923C4784
	v_add_u32_e32 v3, s60, v1                                  // 0000000042C0: 6806023C
	v_add_u32_e32 v4, s60, v2                                  // 0000000042C4: 6808043C
	s_mov_b32 s71, s7                                          // 0000000042C8: BEC70007
	v_lshrrev_b32_e32 v28, 4, v0                               // 0000000042CC: 20380084
	v_and_b32_e32 v29, 1, v28                                  // 0000000042D0: 263A3881
	v_lshlrev_b32_e32 v29, 1, v29                              // 0000000042D4: 243A3A81
	v_mul_i32_i24_e32 v29, s71, v29                            // 0000000042D8: 0C3A3A47
	v_and_b32_e32 v30, 2, v28                                  // 0000000042DC: 263C3882
	v_lshlrev_b32_e32 v30, 5, v30                              // 0000000042E0: 243C3C85
	v_add_u32_e32 v29, v30, v29                                // 0000000042E4: 683A3B1E
	v_and_b32_e32 v28, 15, v0                                  // 0000000042E8: 2638008F
	v_lshlrev_b32_e32 v28, 2, v28                              // 0000000042EC: 24383882
	v_add_u32_e32 v252, v28, v29                               // 0000000042F0: 69F83B1C
	s_and_b32 s60, 1, s46                                      // 0000000042F4: 863C2E81
	s_mul_i32 s60, s60, s71                                    // 0000000042F8: 923C473C
	s_mul_i32 s60, s60, 8                                      // 0000000042FC: 923C883C
	s_lshr_b32 s61, s46, 1                                     // 000000004300: 8F3D812E
	s_mul_i32 s61, s61, 0x80                                   // 000000004304: 923DFF3D 00000080
	s_add_u32 s60, s60, s61                                    // 00000000430C: 803C3D3C
	v_add_u32_e32 v252, s60, v252                              // 000000004310: 69F9F83C
	v_add_u32_e32 v253, s71, v252                              // 000000004314: 69FBF847
	s_mul_i32 s60, 4, s71                                      // 000000004318: 923C4784
	v_add_u32_e32 v254, s60, v252                              // 00000000431C: 69FDF83C
	v_add_u32_e32 v255, s60, v253                              // 000000004320: 69FFFA3C
	v_lshrrev_b32_e32 v1, 2, v1                                // 000000004324: 20020282
	v_lshrrev_b32_e32 v2, 2, v2                                // 000000004328: 20040482
	v_lshrrev_b32_e32 v3, 2, v3                                // 00000000432C: 20060682
	v_lshrrev_b32_e32 v4, 2, v4                                // 000000004330: 20080882
	v_lshrrev_b32_e32 v252, 2, v252                            // 000000004334: 21F9F882
	v_lshrrev_b32_e32 v253, 2, v253                            // 000000004338: 21FBFA82
	v_lshrrev_b32_e32 v254, 2, v254                            // 00000000433C: 21FDFC82
	v_lshrrev_b32_e32 v255, 2, v255                            // 000000004340: 21FFFE82
	v_and_b32_e32 v9, 15, v0                                   // 000000004344: 2612008F
	v_lshlrev_b32_e32 v9, 2, v9                                // 000000004348: 24121282
	v_add_u32_e32 v9, s65, v9                                  // 00000000434C: 68121241
	v_lshrrev_b32_e32 v9, 2, v9                                // 000000004350: 20121282
	s_mov_b32 s70, s52                                         // 000000004354: BEC60034
	v_lshrrev_b32_e32 v28, 4, v0                               // 000000004358: 20380084
	v_mul_i32_i24_e32 v5, s70, v28                             // 00000000435C: 0C0A3846
	v_lshrrev_b32_e32 v5, 2, v5                                // 000000004360: 200A0A82
	v_and_b32_e32 v28, 15, v0                                  // 000000004364: 2638008F
	v_lshlrev_b32_e32 v29, 2, v28                              // 000000004368: 243A3882
	v_add_u32_e32 v5, v29, v5                                  // 00000000436C: 680A0B1D
	s_mul_i32 s60, 16, s70                                     // 000000004370: 923C4690
	s_mul_i32 s60, s46, s60                                    // 000000004374: 923C3C2E
	v_lshlrev_b32_e32 v5, 2, v5                                // 000000004378: 240A0A82
	v_add_u32_e32 v5, s60, v5                                  // 00000000437C: 680A0A3C
	s_mul_i32 s60, 0xc0, s52                                   // 000000004380: 923C34FF 000000C0
	s_mul_i32 s60, s2, s60                                     // 000000004388: 923C3C02
	s_mul_i32 s61, s3, s90                                     // 00000000438C: 923D5A03
	s_mul_i32 s62, s4, s91                                     // 000000004390: 923E5B04
	s_add_u32 s60, s60, s61                                    // 000000004394: 803C3D3C
	v_add_u32_e32 v5, s60, v5                                  // 000000004398: 680A0A3C
	v_lshrrev_b32_e32 v5, 2, v5                                // 00000000439C: 200A0A82
	s_mul_i32 s60, s50, s52                                    // 0000000043A0: 923C3432
	s_add_u32 s60, s60, s61                                    // 0000000043A4: 803C3D3C
	s_lshr_b32 s60, s60, 2                                     // 0000000043A8: 8F3C823C
	s_mov_b32 s38, s60                                         // 0000000043AC: BEA6003C
	s_mul_hi_u32 s60, s4, s91                                  // 0000000043B0: 963C5B04
	s_and_b32 s60, s60, 0xffff                                 // 0000000043B4: 863CFF3C 0000FFFF
	s_add_u32 s36, s62, s36                                    // 0000000043BC: 8024243E
	s_addc_u32 s37, s60, s37                                   // 0000000043C0: 8225253C
	s_mov_b32 s70, s53                                         // 0000000043C4: BEC60035
	v_lshrrev_b32_e32 v28, 4, v0                               // 0000000043C8: 20380084
	v_mul_i32_i24_e32 v6, s70, v28                             // 0000000043CC: 0C0C3846
	v_lshrrev_b32_e32 v6, 2, v6                                // 0000000043D0: 200C0C82
	v_and_b32_e32 v28, 15, v0                                  // 0000000043D4: 2638008F
	v_lshlrev_b32_e32 v29, 2, v28                              // 0000000043D8: 243A3882
	v_add_u32_e32 v6, v29, v6                                  // 0000000043DC: 680C0D1D
	s_mul_i32 s60, 16, s70                                     // 0000000043E0: 923C4690
	s_mul_i32 s60, s46, s60                                    // 0000000043E4: 923C3C2E
	v_lshlrev_b32_e32 v6, 2, v6                                // 0000000043E8: 240C0C82
	v_add_u32_e32 v6, s60, v6                                  // 0000000043EC: 680C0C3C
	s_mul_i32 s60, 0xc0, s53                                   // 0000000043F0: 923C35FF 000000C0
	s_mul_i32 s60, s2, s60                                     // 0000000043F8: 923C3C02
	s_mul_i32 s61, s3, s92                                     // 0000000043FC: 923D5C03
	s_mul_i32 s62, s4, s93                                     // 000000004400: 923E5D04
	s_add_u32 s60, s60, s61                                    // 000000004404: 803C3D3C
	v_add_u32_e32 v6, s60, v6                                  // 000000004408: 680C0C3C
	v_lshrrev_b32_e32 v6, 2, v6                                // 00000000440C: 200C0C82
	s_mul_i32 s60, s50, s53                                    // 000000004410: 923C3532
	s_add_u32 s60, s60, s61                                    // 000000004414: 803C3D3C
	s_lshr_b32 s60, s60, 2                                     // 000000004418: 8F3C823C
	s_mov_b32 s42, s60                                         // 00000000441C: BEAA003C
	s_mul_hi_u32 s60, s4, s93                                  // 000000004420: 963C5D04
	s_and_b32 s60, s60, 0xffff                                 // 000000004424: 863CFF3C 0000FFFF
	s_add_u32 s40, s62, s40                                    // 00000000442C: 8028283E
	s_addc_u32 s41, s60, s41                                   // 000000004430: 8229293C
	v_lshrrev_b32_e32 v28, 5, v0                               // 000000004434: 20380085
	v_mul_i32_i24_e64 v29, s96, 2                              // 000000004438: D106001D 00010460
	v_mul_i32_i24_e32 v7, v29, v28                             // 000000004440: 0C0E391D
	v_and_b32_e32 v28, 31, v0                                  // 000000004444: 2638009F
	v_add_u32_e32 v7, v28, v7                                  // 000000004448: 680E0F1C
	s_mul_i32 s60, 4, s96                                      // 00000000444C: 923C6084
	s_mul_i32 s60, s46, s60                                    // 000000004450: 923C3C2E
	v_add_u32_e32 v7, s60, v7                                  // 000000004454: 680E0E3C
	v_lshlrev_b32_e32 v7, 2, v7                                // 000000004458: 240E0E82
	v_mul_i32_i24_e32 v29, 2, v29                              // 00000000445C: 0C3A3A82
	v_add_u32_e32 v8, v29, v7                                  // 000000004460: 68100F1D
	s_mul_i32 s72, s96, s65                                    // 000000004464: 92484160
	s_mul_hi_u32 s62, s96, s65                                 // 000000004468: 963E4160
	s_and_b32 s62, s62, 0xffff                                 // 00000000446C: 863EFF3E 0000FFFF
	s_add_u32 s32, s72, s32                                    // 000000004474: 80202048
	s_addc_u32 s33, s62, s33                                   // 000000004478: 8221213E
	s_mul_i32 s60, s96, s49                                    // 00000000447C: 923C3160
	s_lshl_b32 s60, s60, 2                                     // 000000004480: 8E3C823C
	s_mov_b32 s34, s60                                         // 000000004484: BEA2003C
	s_mul_i32 s60, 3, s2                                       // 000000004488: 923C0283
	s_add_u32 s61, s50, 63                                     // 00000000448C: 803DBF32
	s_lshr_b32 s61, s61, 6                                     // 000000004490: 8F3D863D
	s_sub_i32 s73, s61, s60                                    // 000000004494: 81C93C3D
	s_cmp_lt_i32 s73, 3                                        // 000000004498: BF048349
	s_cselect_b32 s73, s73, 3                                  // 00000000449C: 85498349
	v_mov_b32_e32 v249, 0xffff0000                             // 0000000044A0: 7FF202FF FFFF0000
	v_mov_b32_e32 v250, 0x7fff0000                             // 0000000044A8: 7FF402FF 7FFF0000
	v_mov_b32_e32 v251, 0x7fff                                 // 0000000044B0: 7FF602FF 00007FFF
	s_mul_i32 s60, 0xc0, s2                                    // 0000000044B8: 923C02FF 000000C0
	s_sub_i32 s99, s50, s60                                    // 0000000044C0: 81E33C32
	s_lshr_b32 s60, s46, 1                                     // 0000000044C4: 8F3C812E
	s_lshl_b32 s60, s60, 8                                     // 0000000044C8: 8E3C883C
	s_add_u32 s76, 0xc600, s60                                 // 0000000044CC: 804C3CFF 0000C600
	s_add_u32 s77, 0x200, s76                                  // 0000000044D4: 804D4CFF 00000200
	s_mov_b32 m0, s76                                          // 0000000044DC: BEFC004C
	v_lshrrev_b32_e32 v28, 2, v0                               // 0000000044E0: 20380082
	v_and_b32_e32 v29, 3, v28                                  // 0000000044E4: 263A3883
	v_lshrrev_b32_e32 v30, 3, v28                              // 0000000044E8: 203C3883
	v_lshlrev_b32_e32 v30, 2, v30                              // 0000000044EC: 243C3C82
	v_add_u32_e32 v28, v30, v29                                // 0000000044F0: 68383B1E
	s_lshr_b32 s60, s46, 1                                     // 0000000044F4: 8F3C812E
	s_sub_i32 s60, 1, s60                                      // 0000000044F8: 81BC3C81
	v_mul_i32_i24_e64 v29, s60, 8                              // 0000000044FC: D106001D 0001103C
	v_mov_b32_e32 v30, s96                                     // 000000004504: 7E3C0260
	v_sub_u32_e64 v30, v30, 64                                 // 000000004508: D135001E 0001811E
	v_lshrrev_b32_e32 v30, 3, v30                              // 000000004510: 203C3C83
	v_add_u32_e32 v29, v30, v29                                // 000000004514: 683A3B1E
	v_cmp_lt_u32_e64 s[88:89], v28, v29                        // 000000004518: D0C90058 00023B1C
	s_mov_b32 s86, -1                                          // 000000004520: BED600C1
	s_mov_b32 s87, -1                                          // 000000004524: BED700C1
	v_and_b32_e32 v28, 15, v0                                  // 000000004528: 2638008F
	v_mov_b32_e32 v29, s96                                     // 00000000452C: 7E3A0260
	v_lshrrev_b32_e32 v29, 3, v29                              // 000000004530: 203A3A83
	v_cmp_lt_u32_e64 s[90:91], v28, v29                        // 000000004534: D0C9005A 00023B1C
	v_and_b32_e32 v28, 31, v0                                  // 00000000453C: 2638009F
	v_lshrrev_b32_e32 v28, 1, v28                              // 000000004540: 20383881
	v_and_b32_e32 v29, 1, v28                                  // 000000004544: 263A3881
	v_lshlrev_b32_e32 v29, 4, v29                              // 000000004548: 243A3A84
	v_and_b32_e32 v30, 2, v28                                  // 00000000454C: 263C3882
	v_lshlrev_b32_e32 v30, 2, v30                              // 000000004550: 243C3C82
	v_add_u32_e32 v29, v30, v29                                // 000000004554: 683A3B1E
	v_and_b32_e32 v30, 12, v28                                 // 000000004558: 263C388C
	v_lshrrev_b32_e32 v30, 1, v30                              // 00000000455C: 203C3C81
	v_add_u32_e32 v29, v30, v29                                // 000000004560: 683A3B1E
	v_lshrrev_b32_e32 v28, 5, v0                               // 000000004564: 20380085
	v_mul_i32_i24_e32 v30, 0x80, v28                           // 000000004568: 0C3C38FF 00000080
	v_add_u32_e32 v29, v30, v29                                // 000000004570: 683A3B1E
	v_and_b32_e32 v30, 1, v0                                   // 000000004574: 263C0081
	v_add_u32_e32 v11, v30, v29                                // 000000004578: 68163B1E
	s_and_b32 s60, 1, s46                                      // 00000000457C: 863C2E81
	s_mul_i32 s60, s60, 64                                     // 000000004580: 923CC03C
	s_lshr_b32 s61, s46, 1                                     // 000000004584: 8F3D812E
	s_mul_i32 s61, s61, 0x220                                  // 000000004588: 923DFF3D 00000220
	s_add_u32 s60, s60, s61                                    // 000000004590: 803C3D3C
	v_add_u32_e32 v11, s60, v11                                // 000000004594: 6816163C
	v_lshlrev_b32_e32 v11, 2, v11                              // 000000004598: 24161682
	v_lshrrev_b32_e32 v28, 4, v0                               // 00000000459C: 20380084
	v_and_b32_e32 v29, 1, v28                                  // 0000000045A0: 263A3881
	v_lshlrev_b32_e32 v29, 4, v29                              // 0000000045A4: 243A3A84
	v_and_b32_e32 v30, 2, v28                                  // 0000000045A8: 263C3882
	v_mul_i32_i24_e32 v30, 4, v30                              // 0000000045AC: 0C3C3C84
	v_add_u32_e32 v29, v30, v29                                // 0000000045B0: 683A3B1E
	v_and_b32_e32 v28, 15, v0                                  // 0000000045B4: 2638008F
	v_lshrrev_b32_e32 v30, 2, v28                              // 0000000045B8: 203C3882
	v_lshlrev_b32_e32 v30, 5, v30                              // 0000000045BC: 243C3C85
	v_add_u32_e32 v29, v30, v29                                // 0000000045C0: 683A3B1E
	v_and_b32_e32 v28, 3, v0                                   // 0000000045C4: 26380083
	v_and_b32_e32 v30, 1, v28                                  // 0000000045C8: 263C3881
	v_mul_i32_i24_e32 v30, 0x108, v30                          // 0000000045CC: 0C3C3CFF 00000108
	v_add_u32_e32 v29, v30, v29                                // 0000000045D4: 683A3B1E
	v_and_b32_e32 v30, 2, v28                                  // 0000000045D8: 263C3882
	v_lshlrev_b32_e32 v30, 1, v30                              // 0000000045DC: 243C3C81
	v_add_u32_e32 v10, v30, v29                                // 0000000045E0: 68143B1E
	v_lshlrev_b32_e32 v10, 2, v10                              // 0000000045E4: 24141482
	s_mul_i32 s60, s46, 0x1100                                 // 0000000045E8: 923CFF2E 00001100
	v_add_u32_e32 v22, s60, v10                                // 0000000045F0: 682C143C
	v_lshrrev_b32_e32 v28, 5, v0                               // 0000000045F4: 20380085
	v_mul_i32_i24_e32 v13, 0x80, v28                           // 0000000045F8: 0C1A38FF 00000080
	v_and_b32_e32 v28, 31, v0                                  // 000000004600: 2638009F
	v_and_b32_e32 v29, 7, v28                                  // 000000004604: 263A3887
	v_and_b32_e32 v30, 1, v29                                  // 000000004608: 263C3A81
	v_lshlrev_b32_e32 v30, 2, v30                              // 00000000460C: 243C3C82
	v_add_u32_e32 v13, v30, v13                                // 000000004610: 681A1B1E
	v_and_b32_e32 v30, 2, v29                                  // 000000004614: 263C3A82
	v_lshlrev_b32_e32 v30, 3, v30                              // 000000004618: 243C3C83
	v_add_u32_e32 v13, v30, v13                                // 00000000461C: 681A1B1E
	v_and_b32_e32 v30, 4, v29                                  // 000000004620: 263C3A84
	v_lshlrev_b32_e32 v30, 1, v30                              // 000000004624: 243C3C81
	v_add_u32_e32 v13, v30, v13                                // 000000004628: 681A1B1E
	v_lshrrev_b32_e32 v29, 3, v28                              // 00000000462C: 203A3883
	v_and_b32_e32 v30, 1, v29                                  // 000000004630: 263C3A81
	v_lshlrev_b32_e32 v30, 1, v30                              // 000000004634: 243C3C81
	v_add_u32_e32 v13, v30, v13                                // 000000004638: 681A1B1E
	v_and_b32_e32 v30, 2, v29                                  // 00000000463C: 263C3A82
	v_lshrrev_b32_e32 v30, 1, v30                              // 000000004640: 203C3C81
	v_add_u32_e32 v13, v30, v13                                // 000000004644: 681A1B1E
	s_and_b32 s60, 1, s46                                      // 000000004648: 863C2E81
	s_mul_i32 s60, s60, 64                                     // 00000000464C: 923CC03C
	s_lshr_b32 s61, s46, 1                                     // 000000004650: 8F3D812E
	s_mul_i32 s61, s61, 0x220                                  // 000000004654: 923DFF3D 00000220
	s_add_u32 s60, s60, s61                                    // 00000000465C: 803C3D3C
	v_add_u32_e32 v13, s60, v13                                // 000000004660: 681A1A3C
	v_lshlrev_b32_e32 v13, 2, v13                              // 000000004664: 241A1A82
	v_and_b32_e32 v28, 15, v0                                  // 000000004668: 2638008F
	v_and_b32_e32 v30, 1, v28                                  // 00000000466C: 263C3881
	v_mul_i32_i24_e32 v12, 0x108, v30                          // 000000004670: 0C183CFF 00000108
	v_and_b32_e32 v30, 2, v28                                  // 000000004678: 263C3882
	v_lshlrev_b32_e32 v30, 1, v30                              // 00000000467C: 243C3C81
	v_add_u32_e32 v12, v30, v12                                // 000000004680: 6818191E
	v_and_b32_e32 v30, 4, v28                                  // 000000004684: 263C3884
	v_lshlrev_b32_e32 v30, 2, v30                              // 000000004688: 243C3C82
	v_add_u32_e32 v12, v30, v12                                // 00000000468C: 6818191E
	v_and_b32_e32 v30, 8, v28                                  // 000000004690: 263C3888
	v_add_u32_e32 v12, v30, v12                                // 000000004694: 6818191E
	v_lshrrev_b32_e32 v28, 4, v0                               // 000000004698: 20380084
	v_and_b32_e32 v30, 1, v28                                  // 00000000469C: 263C3881
	v_lshlrev_b32_e32 v30, 5, v30                              // 0000000046A0: 243C3C85
	v_add_u32_e32 v12, v30, v12                                // 0000000046A4: 6818191E
	v_and_b32_e32 v29, 2, v28                                  // 0000000046A8: 263A3882
	v_mul_i32_i24_e32 v30, 32, v29                             // 0000000046AC: 0C3C3AA0
	v_mul_i32_i24_e32 v29, 0x220, v29                          // 0000000046B0: 0C3A3AFF 00000220
	v_add_u32_e32 v23, v29, v12                                // 0000000046B8: 682E191D
	v_add_u32_e32 v12, v30, v12                                // 0000000046BC: 6818191E
	v_lshlrev_b32_e32 v12, 2, v12                              // 0000000046C0: 24181882
	v_lshlrev_b32_e32 v23, 2, v23                              // 0000000046C4: 242E2E82
	s_and_b32 s60, 1, s46                                      // 0000000046C8: 863C2E81
	s_mul_i32 s60, s60, 0x200                                  // 0000000046CC: 923CFF3C 00000200
	s_lshr_b32 s61, s46, 1                                     // 0000000046D4: 8F3D812E
	s_mul_i32 s61, s61, 0x880                                  // 0000000046D8: 923DFF3D 00000880
	s_add_u32 s60, s60, s61                                    // 0000000046E0: 803C3D3C
	v_add_u32_e32 v23, s60, v23                                // 0000000046E4: 682E2E3C
	v_lshrrev_b32_e32 v28, 4, v0                               // 0000000046E8: 20380084
	v_mul_i32_i24_e32 v21, 4, v28                              // 0000000046EC: 0C2A3884
	v_and_b32_e32 v29, 3, v0                                   // 0000000046F0: 263A0083
	v_add_u32_e32 v21, v29, v21                                // 0000000046F4: 682A2B1D
	v_lshlrev_b32_e32 v21, 2, v21                              // 0000000046F8: 242A2A82
	v_lshrrev_b32_e32 v28, 4, v0                               // 0000000046FC: 20380084
	v_and_b32_e32 v29, 1, v28                                  // 000000004700: 263A3881
	v_mul_i32_i24_e32 v19, 0x100, v29                          // 000000004704: 0C263AFF 00000100
	v_and_b32_e32 v29, 2, v28                                  // 00000000470C: 263A3882
	v_mul_i32_i24_e32 v29, 64, v29                             // 000000004710: 0C3A3AC0
	v_add_u32_e32 v19, v29, v19                                // 000000004714: 6826271D
	v_and_b32_e32 v28, 15, v0                                  // 000000004718: 2638008F
	v_mul_i32_i24_e32 v29, 2, v28                              // 00000000471C: 0C3A3882
	v_add_u32_e32 v19, v29, v19                                // 000000004720: 6826271D
	s_mul_i32 s60, s46, 32                                     // 000000004724: 923CA02E
	v_add_u32_e32 v19, s60, v19                                // 000000004728: 6826263C
	v_lshlrev_b32_e32 v19, 2, v19                              // 00000000472C: 24262682
	v_lshlrev_b32_e32 v20, 1, v0                               // 000000004730: 24280081
	s_mul_i32 s60, s46, 0x200                                  // 000000004734: 923CFF2E 00000200
	v_add_u32_e32 v20, s60, v20                                // 00000000473C: 6828283C
	v_lshlrev_b32_e32 v20, 2, v20                              // 000000004740: 24282882
	v_lshrrev_b32_e32 v28, 5, v0                               // 000000004744: 20380085
	v_mul_i32_i24_e32 v17, 64, v28                             // 000000004748: 0C2238C0
	v_and_b32_e32 v28, 31, v0                                  // 00000000474C: 2638009F
	v_and_b32_e32 v28, 3, v28                                  // 000000004750: 26383883
	v_and_b32_e32 v29, 1, v28                                  // 000000004754: 263A3881
	v_mul_i32_i24_e32 v29, 4, v29                              // 000000004758: 0C3A3A84
	v_add_u32_e32 v17, v29, v17                                // 00000000475C: 6822231D
	v_and_b32_e32 v29, 2, v28                                  // 000000004760: 263A3882
	v_mul_i32_i24_e32 v29, 0x44, v29                           // 000000004764: 0C3A3AFF 00000044
	v_add_u32_e32 v17, v29, v17                                // 00000000476C: 6822231D
	v_and_b32_e32 v28, 31, v0                                  // 000000004770: 2638009F
	v_lshrrev_b32_e32 v28, 2, v28                              // 000000004774: 20383882
	v_lshrrev_b32_e32 v30, 2, v28                              // 000000004778: 203C3882
	v_mul_i32_i24_e32 v29, 16, v30                             // 00000000477C: 0C3A3C90
	v_add_u32_e32 v17, v29, v17                                // 000000004780: 6822231D
	v_and_b32_e32 v29, 2, v28                                  // 000000004784: 263A3882
	v_lshlrev_b32_e32 v29, 4, v29                              // 000000004788: 243A3A84
	v_add_u32_e32 v17, v29, v17                                // 00000000478C: 6822231D
	v_and_b32_e32 v29, 1, v28                                  // 000000004790: 263A3881
	v_xor_b32_e32 v29, v30, v29                                // 000000004794: 2A3A3B1E
	v_mul_i32_i24_e32 v29, 8, v29                              // 000000004798: 0C3A3A88
	v_add_u32_e32 v17, v29, v17                                // 00000000479C: 6822231D
	v_lshlrev_b32_e32 v17, 2, v17                              // 0000000047A0: 24222282
	v_lshrrev_b32_e32 v28, 5, v0                               // 0000000047A4: 20380085
	v_mul_i32_i24_e32 v18, 32, v28                             // 0000000047A8: 0C2438A0
	v_and_b32_e32 v28, 31, v0                                  // 0000000047AC: 2638009F
	v_and_b32_e32 v28, 3, v28                                  // 0000000047B0: 26383883
	v_and_b32_e32 v29, 1, v28                                  // 0000000047B4: 263A3881
	v_mul_i32_i24_e32 v29, 4, v29                              // 0000000047B8: 0C3A3A84
	v_add_u32_e32 v18, v29, v18                                // 0000000047BC: 6824251D
	v_and_b32_e32 v29, 2, v28                                  // 0000000047C0: 263A3882
	v_lshrrev_b32_e32 v29, 1, v29                              // 0000000047C4: 203A3A81
	v_add_u32_e32 v18, v29, v18                                // 0000000047C8: 6824251D
	v_and_b32_e32 v28, 31, v0                                  // 0000000047CC: 2638009F
	v_lshrrev_b32_e32 v28, 2, v28                              // 0000000047D0: 20383882
	v_and_b32_e32 v30, 1, v28                                  // 0000000047D4: 263C3881
	v_mul_i32_i24_e32 v29, 16, v30                             // 0000000047D8: 0C3A3C90
	v_add_u32_e32 v18, v29, v18                                // 0000000047DC: 6824251D
	v_and_b32_e32 v29, 2, v28                                  // 0000000047E0: 263A3882
	v_add_u32_e32 v18, v29, v18                                // 0000000047E4: 6824251D
	v_lshrrev_b32_e32 v29, 2, v28                              // 0000000047E8: 203A3882
	v_xor_b32_e32 v29, v30, v29                                // 0000000047EC: 2A3A3B1E
	v_mul_i32_i24_e32 v29, 8, v29                              // 0000000047F0: 0C3A3A88
	v_add_u32_e32 v18, v29, v18                                // 0000000047F4: 6824251D
	s_and_b32 s60, 1, s46                                      // 0000000047F8: 863C2E81
	s_mul_i32 s60, s60, 64                                     // 0000000047FC: 923CC03C
	s_lshr_b32 s61, s46, 1                                     // 000000004800: 8F3D812E
	s_mul_i32 s61, s61, 0x120                                  // 000000004804: 923DFF3D 00000120
	s_add_u32 s60, s60, s61                                    // 00000000480C: 803C3D3C
	v_add_u32_e32 v18, s60, v18                                // 000000004810: 6824243C
	v_lshlrev_b32_e32 v18, 2, v18                              // 000000004814: 24242482
	v_mov_b32_e32 v152, 0                                      // 000000004818: 7F300280
	s_mov_b64 exec, s[88:89]                                   // 00000000481C: BEFE0158
	buffer_load_dword v152, v1, s[12:15], 0 idxen              // 000000004820: E0502000 80039801
	s_mov_b64 exec, s[86:87]                                   // 000000004828: BEFE0156
	v_mov_b32_e32 v153, 0                                      // 00000000482C: 7F320280
	s_mov_b64 exec, s[88:89]                                   // 000000004830: BEFE0158
	buffer_load_dword v153, v2, s[12:15], 0 idxen              // 000000004834: E0502000 80039902
	s_mov_b64 exec, s[86:87]                                   // 00000000483C: BEFE0156
	v_mov_b32_e32 v154, 0                                      // 000000004840: 7F340280
	s_mov_b64 exec, s[88:89]                                   // 000000004844: BEFE0158
	buffer_load_dword v154, v3, s[12:15], 0 idxen              // 000000004848: E0502000 80039A03
	s_mov_b64 exec, s[86:87]                                   // 000000004850: BEFE0156
	v_mov_b32_e32 v155, 0                                      // 000000004854: 7F360280
	s_mov_b64 exec, s[88:89]                                   // 000000004858: BEFE0158
	buffer_load_dword v155, v4, s[12:15], 0 idxen              // 00000000485C: E0502000 80039B04
	s_mov_b64 exec, s[86:87]                                   // 000000004864: BEFE0156
	s_mul_i32 s60, 4, s6                                       // 000000004868: 923C0684
	s_cmp_lt_i32 0, s73                                        // 00000000486C: BF044980
	s_cselect_b32 s60, s60, 0                                  // 000000004870: 853C803C
	v_add_u32_e32 v1, s60, v1                                  // 000000004874: 6802023C
	v_add_u32_e32 v2, s60, v2                                  // 000000004878: 6804043C
	v_add_u32_e32 v3, s60, v3                                  // 00000000487C: 6806063C
	v_add_u32_e32 v4, s60, v4                                  // 000000004880: 6808083C
	v_mov_b32_e32 v156, 0                                      // 000000004884: 7F380280
	s_mov_b64 exec, s[88:89]                                   // 000000004888: BEFE0158
	buffer_load_dword v156, v1, s[12:15], 0 idxen              // 00000000488C: E0502000 80039C01
	s_mov_b64 exec, s[86:87]                                   // 000000004894: BEFE0156
	v_mov_b32_e32 v157, 0                                      // 000000004898: 7F3A0280
	s_mov_b64 exec, s[88:89]                                   // 00000000489C: BEFE0158
	buffer_load_dword v157, v2, s[12:15], 0 idxen              // 0000000048A0: E0502000 80039D02
	s_mov_b64 exec, s[86:87]                                   // 0000000048A8: BEFE0156
	v_mov_b32_e32 v158, 0                                      // 0000000048AC: 7F3C0280
	s_mov_b64 exec, s[88:89]                                   // 0000000048B0: BEFE0158
	buffer_load_dword v158, v3, s[12:15], 0 idxen              // 0000000048B4: E0502000 80039E03
	s_mov_b64 exec, s[86:87]                                   // 0000000048BC: BEFE0156
	v_mov_b32_e32 v159, 0                                      // 0000000048C0: 7F3E0280
	s_mov_b64 exec, s[88:89]                                   // 0000000048C4: BEFE0158
	buffer_load_dword v159, v4, s[12:15], 0 idxen              // 0000000048C8: E0502000 80039F04
	s_mov_b64 exec, s[86:87]                                   // 0000000048D0: BEFE0156
	s_mul_i32 s60, 4, s6                                       // 0000000048D4: 923C0684
	s_cmp_lt_i32 0, s73                                        // 0000000048D8: BF044980
	s_cselect_b32 s60, s60, 0                                  // 0000000048DC: 853C803C
	v_add_u32_e32 v1, s60, v1                                  // 0000000048E0: 6802023C
	v_add_u32_e32 v2, s60, v2                                  // 0000000048E4: 6804043C
	v_add_u32_e32 v3, s60, v3                                  // 0000000048E8: 6806063C
	v_add_u32_e32 v4, s60, v4                                  // 0000000048EC: 6808083C
	v_mov_b32_e32 v160, 0                                      // 0000000048F0: 7F400280
	s_mov_b64 exec, s[88:89]                                   // 0000000048F4: BEFE0158
	buffer_load_dword v160, v1, s[12:15], 0 idxen              // 0000000048F8: E0502000 8003A001
	s_mov_b64 exec, s[86:87]                                   // 000000004900: BEFE0156
	v_mov_b32_e32 v161, 0                                      // 000000004904: 7F420280
	s_mov_b64 exec, s[88:89]                                   // 000000004908: BEFE0158
	buffer_load_dword v161, v2, s[12:15], 0 idxen              // 00000000490C: E0502000 8003A102
	s_mov_b64 exec, s[86:87]                                   // 000000004914: BEFE0156
	v_mov_b32_e32 v162, 0                                      // 000000004918: 7F440280
	s_mov_b64 exec, s[88:89]                                   // 00000000491C: BEFE0158
	buffer_load_dword v162, v3, s[12:15], 0 idxen              // 000000004920: E0502000 8003A203
	s_mov_b64 exec, s[86:87]                                   // 000000004928: BEFE0156
	v_mov_b32_e32 v163, 0                                      // 00000000492C: 7F460280
	s_mov_b64 exec, s[88:89]                                   // 000000004930: BEFE0158
	buffer_load_dword v163, v4, s[12:15], 0 idxen              // 000000004934: E0502000 8003A304
	s_mov_b64 exec, s[86:87]                                   // 00000000493C: BEFE0156
	s_mul_i32 s60, 4, s6                                       // 000000004940: 923C0684
	s_cmp_lt_i32 0, s73                                        // 000000004944: BF044980
	s_cselect_b32 s60, s60, 0                                  // 000000004948: 853C803C
	v_add_u32_e32 v1, s60, v1                                  // 00000000494C: 6802023C
	v_add_u32_e32 v2, s60, v2                                  // 000000004950: 6804043C
	v_add_u32_e32 v3, s60, v3                                  // 000000004954: 6806063C
	v_add_u32_e32 v4, s60, v4                                  // 000000004958: 6808083C
	v_mov_b32_e32 v164, 0                                      // 00000000495C: 7F480280
	s_mov_b64 exec, s[88:89]                                   // 000000004960: BEFE0158
	buffer_load_dword v164, v1, s[12:15], 0 idxen              // 000000004964: E0502000 8003A401
	s_mov_b64 exec, s[86:87]                                   // 00000000496C: BEFE0156
	v_mov_b32_e32 v165, 0                                      // 000000004970: 7F4A0280
	s_mov_b64 exec, s[88:89]                                   // 000000004974: BEFE0158
	buffer_load_dword v165, v2, s[12:15], 0 idxen              // 000000004978: E0502000 8003A502
	s_mov_b64 exec, s[86:87]                                   // 000000004980: BEFE0156
	v_mov_b32_e32 v166, 0                                      // 000000004984: 7F4C0280
	s_mov_b64 exec, s[88:89]                                   // 000000004988: BEFE0158
	buffer_load_dword v166, v3, s[12:15], 0 idxen              // 00000000498C: E0502000 8003A603
	s_mov_b64 exec, s[86:87]                                   // 000000004994: BEFE0156
	v_mov_b32_e32 v167, 0                                      // 000000004998: 7F4E0280
	s_mov_b64 exec, s[88:89]                                   // 00000000499C: BEFE0158
	buffer_load_dword v167, v4, s[12:15], 0 idxen              // 0000000049A0: E0502000 8003A704
	s_mov_b64 exec, s[86:87]                                   // 0000000049A8: BEFE0156
	s_mul_i32 s60, 4, s6                                       // 0000000049AC: 923C0684
	s_cmp_lt_i32 1, s73                                        // 0000000049B0: BF044981
	s_cselect_b32 s60, s60, 0                                  // 0000000049B4: 853C803C
	v_add_u32_e32 v1, s60, v1                                  // 0000000049B8: 6802023C
	v_add_u32_e32 v2, s60, v2                                  // 0000000049BC: 6804043C
	v_add_u32_e32 v3, s60, v3                                  // 0000000049C0: 6806063C
	v_add_u32_e32 v4, s60, v4                                  // 0000000049C4: 6808083C
	v_mov_b32_e32 v168, 0                                      // 0000000049C8: 7F500280
	s_mov_b64 exec, s[88:89]                                   // 0000000049CC: BEFE0158
	buffer_load_dword v168, v1, s[12:15], 0 idxen              // 0000000049D0: E0502000 8003A801
	s_mov_b64 exec, s[86:87]                                   // 0000000049D8: BEFE0156
	v_mov_b32_e32 v169, 0                                      // 0000000049DC: 7F520280
	s_mov_b64 exec, s[88:89]                                   // 0000000049E0: BEFE0158
	buffer_load_dword v169, v2, s[12:15], 0 idxen              // 0000000049E4: E0502000 8003A902
	s_mov_b64 exec, s[86:87]                                   // 0000000049EC: BEFE0156
	v_mov_b32_e32 v170, 0                                      // 0000000049F0: 7F540280
	s_mov_b64 exec, s[88:89]                                   // 0000000049F4: BEFE0158
	buffer_load_dword v170, v3, s[12:15], 0 idxen              // 0000000049F8: E0502000 8003AA03
	s_mov_b64 exec, s[86:87]                                   // 000000004A00: BEFE0156
	v_mov_b32_e32 v171, 0                                      // 000000004A04: 7F560280
	s_mov_b64 exec, s[88:89]                                   // 000000004A08: BEFE0158
	buffer_load_dword v171, v4, s[12:15], 0 idxen              // 000000004A0C: E0502000 8003AB04
	s_mov_b64 exec, s[86:87]                                   // 000000004A14: BEFE0156
	s_mul_i32 s60, 4, s6                                       // 000000004A18: 923C0684
	s_cmp_lt_i32 1, s73                                        // 000000004A1C: BF044981
	s_cselect_b32 s60, s60, 0                                  // 000000004A20: 853C803C
	v_add_u32_e32 v1, s60, v1                                  // 000000004A24: 6802023C
	v_add_u32_e32 v2, s60, v2                                  // 000000004A28: 6804043C
	v_add_u32_e32 v3, s60, v3                                  // 000000004A2C: 6806063C
	v_add_u32_e32 v4, s60, v4                                  // 000000004A30: 6808083C
	v_mov_b32_e32 v172, 0                                      // 000000004A34: 7F580280
	s_mov_b64 exec, s[88:89]                                   // 000000004A38: BEFE0158
	buffer_load_dword v172, v1, s[12:15], 0 idxen              // 000000004A3C: E0502000 8003AC01
	s_mov_b64 exec, s[86:87]                                   // 000000004A44: BEFE0156
	v_mov_b32_e32 v173, 0                                      // 000000004A48: 7F5A0280
	s_mov_b64 exec, s[88:89]                                   // 000000004A4C: BEFE0158
	buffer_load_dword v173, v2, s[12:15], 0 idxen              // 000000004A50: E0502000 8003AD02
	s_mov_b64 exec, s[86:87]                                   // 000000004A58: BEFE0156
	v_mov_b32_e32 v174, 0                                      // 000000004A5C: 7F5C0280
	s_mov_b64 exec, s[88:89]                                   // 000000004A60: BEFE0158
	buffer_load_dword v174, v3, s[12:15], 0 idxen              // 000000004A64: E0502000 8003AE03
	s_mov_b64 exec, s[86:87]                                   // 000000004A6C: BEFE0156
	v_mov_b32_e32 v175, 0                                      // 000000004A70: 7F5E0280
	s_mov_b64 exec, s[88:89]                                   // 000000004A74: BEFE0158
	buffer_load_dword v175, v4, s[12:15], 0 idxen              // 000000004A78: E0502000 8003AF04
	s_mov_b64 exec, s[86:87]                                   // 000000004A80: BEFE0156
	s_mul_i32 s60, 4, s6                                       // 000000004A84: 923C0684
	s_cmp_lt_i32 1, s73                                        // 000000004A88: BF044981
	s_cselect_b32 s60, s60, 0                                  // 000000004A8C: 853C803C
	v_add_u32_e32 v1, s60, v1                                  // 000000004A90: 6802023C
	v_add_u32_e32 v2, s60, v2                                  // 000000004A94: 6804043C
	v_add_u32_e32 v3, s60, v3                                  // 000000004A98: 6806063C
	v_add_u32_e32 v4, s60, v4                                  // 000000004A9C: 6808083C
	v_mov_b32_e32 v176, 0                                      // 000000004AA0: 7F600280
	s_mov_b64 exec, s[88:89]                                   // 000000004AA4: BEFE0158
	buffer_load_dword v176, v1, s[12:15], 0 idxen              // 000000004AA8: E0502000 8003B001
	s_mov_b64 exec, s[86:87]                                   // 000000004AB0: BEFE0156
	v_mov_b32_e32 v177, 0                                      // 000000004AB4: 7F620280
	s_mov_b64 exec, s[88:89]                                   // 000000004AB8: BEFE0158
	buffer_load_dword v177, v2, s[12:15], 0 idxen              // 000000004ABC: E0502000 8003B102
	s_mov_b64 exec, s[86:87]                                   // 000000004AC4: BEFE0156
	v_mov_b32_e32 v178, 0                                      // 000000004AC8: 7F640280
	s_mov_b64 exec, s[88:89]                                   // 000000004ACC: BEFE0158
	buffer_load_dword v178, v3, s[12:15], 0 idxen              // 000000004AD0: E0502000 8003B203
	s_mov_b64 exec, s[86:87]                                   // 000000004AD8: BEFE0156
	v_mov_b32_e32 v179, 0                                      // 000000004ADC: 7F660280
	s_mov_b64 exec, s[88:89]                                   // 000000004AE0: BEFE0158
	buffer_load_dword v179, v4, s[12:15], 0 idxen              // 000000004AE4: E0502000 8003B304
	s_mov_b64 exec, s[86:87]                                   // 000000004AEC: BEFE0156
	s_mul_i32 s60, 4, s6                                       // 000000004AF0: 923C0684
	s_cmp_lt_i32 1, s73                                        // 000000004AF4: BF044981
	s_cselect_b32 s60, s60, 0                                  // 000000004AF8: 853C803C
	v_add_u32_e32 v1, s60, v1                                  // 000000004AFC: 6802023C
	v_add_u32_e32 v2, s60, v2                                  // 000000004B00: 6804043C
	v_add_u32_e32 v3, s60, v3                                  // 000000004B04: 6806063C
	v_add_u32_e32 v4, s60, v4                                  // 000000004B08: 6808083C
	v_mov_b32_e32 v180, 0                                      // 000000004B0C: 7F680280
	s_mov_b64 exec, s[88:89]                                   // 000000004B10: BEFE0158
	buffer_load_dword v180, v1, s[12:15], 0 idxen              // 000000004B14: E0502000 8003B401
	s_mov_b64 exec, s[86:87]                                   // 000000004B1C: BEFE0156
	v_mov_b32_e32 v181, 0                                      // 000000004B20: 7F6A0280
	s_mov_b64 exec, s[88:89]                                   // 000000004B24: BEFE0158
	buffer_load_dword v181, v2, s[12:15], 0 idxen              // 000000004B28: E0502000 8003B502
	s_mov_b64 exec, s[86:87]                                   // 000000004B30: BEFE0156
	v_mov_b32_e32 v182, 0                                      // 000000004B34: 7F6C0280
	s_mov_b64 exec, s[88:89]                                   // 000000004B38: BEFE0158
	buffer_load_dword v182, v3, s[12:15], 0 idxen              // 000000004B3C: E0502000 8003B603
	s_mov_b64 exec, s[86:87]                                   // 000000004B44: BEFE0156
	v_mov_b32_e32 v183, 0                                      // 000000004B48: 7F6E0280
	s_mov_b64 exec, s[88:89]                                   // 000000004B4C: BEFE0158
	buffer_load_dword v183, v4, s[12:15], 0 idxen              // 000000004B50: E0502000 8003B704
	s_mov_b64 exec, s[86:87]                                   // 000000004B58: BEFE0156
	s_mul_i32 s60, 4, s6                                       // 000000004B5C: 923C0684
	s_cmp_lt_i32 2, s73                                        // 000000004B60: BF044982
	s_cselect_b32 s60, s60, 0                                  // 000000004B64: 853C803C
	v_add_u32_e32 v1, s60, v1                                  // 000000004B68: 6802023C
	v_add_u32_e32 v2, s60, v2                                  // 000000004B6C: 6804043C
	v_add_u32_e32 v3, s60, v3                                  // 000000004B70: 6806063C
	v_add_u32_e32 v4, s60, v4                                  // 000000004B74: 6808083C
	v_mov_b32_e32 v184, 0                                      // 000000004B78: 7F700280
	s_mov_b64 exec, s[88:89]                                   // 000000004B7C: BEFE0158
	buffer_load_dword v184, v1, s[12:15], 0 idxen              // 000000004B80: E0502000 8003B801
	s_mov_b64 exec, s[86:87]                                   // 000000004B88: BEFE0156
	v_mov_b32_e32 v185, 0                                      // 000000004B8C: 7F720280
	s_mov_b64 exec, s[88:89]                                   // 000000004B90: BEFE0158
	buffer_load_dword v185, v2, s[12:15], 0 idxen              // 000000004B94: E0502000 8003B902
	s_mov_b64 exec, s[86:87]                                   // 000000004B9C: BEFE0156
	v_mov_b32_e32 v186, 0                                      // 000000004BA0: 7F740280
	s_mov_b64 exec, s[88:89]                                   // 000000004BA4: BEFE0158
	buffer_load_dword v186, v3, s[12:15], 0 idxen              // 000000004BA8: E0502000 8003BA03
	s_mov_b64 exec, s[86:87]                                   // 000000004BB0: BEFE0156
	v_mov_b32_e32 v187, 0                                      // 000000004BB4: 7F760280
	s_mov_b64 exec, s[88:89]                                   // 000000004BB8: BEFE0158
	buffer_load_dword v187, v4, s[12:15], 0 idxen              // 000000004BBC: E0502000 8003BB04
	s_mov_b64 exec, s[86:87]                                   // 000000004BC4: BEFE0156
	s_mul_i32 s60, 4, s6                                       // 000000004BC8: 923C0684
	s_cmp_lt_i32 2, s73                                        // 000000004BCC: BF044982
	s_cselect_b32 s60, s60, 0                                  // 000000004BD0: 853C803C
	v_add_u32_e32 v1, s60, v1                                  // 000000004BD4: 6802023C
	v_add_u32_e32 v2, s60, v2                                  // 000000004BD8: 6804043C
	v_add_u32_e32 v3, s60, v3                                  // 000000004BDC: 6806063C
	v_add_u32_e32 v4, s60, v4                                  // 000000004BE0: 6808083C
	v_mov_b32_e32 v188, 0                                      // 000000004BE4: 7F780280
	s_mov_b64 exec, s[88:89]                                   // 000000004BE8: BEFE0158
	buffer_load_dword v188, v1, s[12:15], 0 idxen              // 000000004BEC: E0502000 8003BC01
	s_mov_b64 exec, s[86:87]                                   // 000000004BF4: BEFE0156
	v_mov_b32_e32 v189, 0                                      // 000000004BF8: 7F7A0280
	s_mov_b64 exec, s[88:89]                                   // 000000004BFC: BEFE0158
	buffer_load_dword v189, v2, s[12:15], 0 idxen              // 000000004C00: E0502000 8003BD02
	s_mov_b64 exec, s[86:87]                                   // 000000004C08: BEFE0156
	v_mov_b32_e32 v190, 0                                      // 000000004C0C: 7F7C0280
	s_mov_b64 exec, s[88:89]                                   // 000000004C10: BEFE0158
	buffer_load_dword v190, v3, s[12:15], 0 idxen              // 000000004C14: E0502000 8003BE03
	s_mov_b64 exec, s[86:87]                                   // 000000004C1C: BEFE0156
	v_mov_b32_e32 v191, 0                                      // 000000004C20: 7F7E0280
	s_mov_b64 exec, s[88:89]                                   // 000000004C24: BEFE0158
	buffer_load_dword v191, v4, s[12:15], 0 idxen              // 000000004C28: E0502000 8003BF04
	s_mov_b64 exec, s[86:87]                                   // 000000004C30: BEFE0156
	s_mul_i32 s60, 4, s6                                       // 000000004C34: 923C0684
	s_cmp_lt_i32 2, s73                                        // 000000004C38: BF044982
	s_cselect_b32 s60, s60, 0                                  // 000000004C3C: 853C803C
	v_add_u32_e32 v1, s60, v1                                  // 000000004C40: 6802023C
	v_add_u32_e32 v2, s60, v2                                  // 000000004C44: 6804043C
	v_add_u32_e32 v3, s60, v3                                  // 000000004C48: 6806063C
	v_add_u32_e32 v4, s60, v4                                  // 000000004C4C: 6808083C
	v_mov_b32_e32 v192, 0                                      // 000000004C50: 7F800280
	s_mov_b64 exec, s[88:89]                                   // 000000004C54: BEFE0158
	buffer_load_dword v192, v1, s[12:15], 0 idxen              // 000000004C58: E0502000 8003C001
	s_mov_b64 exec, s[86:87]                                   // 000000004C60: BEFE0156
	v_mov_b32_e32 v193, 0                                      // 000000004C64: 7F820280
	s_mov_b64 exec, s[88:89]                                   // 000000004C68: BEFE0158
	buffer_load_dword v193, v2, s[12:15], 0 idxen              // 000000004C6C: E0502000 8003C102
	s_mov_b64 exec, s[86:87]                                   // 000000004C74: BEFE0156
	v_mov_b32_e32 v194, 0                                      // 000000004C78: 7F840280
	s_mov_b64 exec, s[88:89]                                   // 000000004C7C: BEFE0158
	buffer_load_dword v194, v3, s[12:15], 0 idxen              // 000000004C80: E0502000 8003C203
	s_mov_b64 exec, s[86:87]                                   // 000000004C88: BEFE0156
	v_mov_b32_e32 v195, 0                                      // 000000004C8C: 7F860280
	s_mov_b64 exec, s[88:89]                                   // 000000004C90: BEFE0158
	buffer_load_dword v195, v4, s[12:15], 0 idxen              // 000000004C94: E0502000 8003C304
	s_mov_b64 exec, s[86:87]                                   // 000000004C9C: BEFE0156
	s_mul_i32 s60, 4, s6                                       // 000000004CA0: 923C0684
	s_cmp_lt_i32 2, s73                                        // 000000004CA4: BF044982
	s_cselect_b32 s60, s60, 0                                  // 000000004CA8: 853C803C
	v_add_u32_e32 v1, s60, v1                                  // 000000004CAC: 6802023C
	v_add_u32_e32 v2, s60, v2                                  // 000000004CB0: 6804043C
	v_add_u32_e32 v3, s60, v3                                  // 000000004CB4: 6806063C
	v_add_u32_e32 v4, s60, v4                                  // 000000004CB8: 6808083C
	v_mov_b32_e32 v196, 0                                      // 000000004CBC: 7F880280
	s_mov_b64 exec, s[88:89]                                   // 000000004CC0: BEFE0158
	buffer_load_dword v196, v1, s[12:15], 0 idxen              // 000000004CC4: E0502000 8003C401
	s_mov_b64 exec, s[86:87]                                   // 000000004CCC: BEFE0156
	v_mov_b32_e32 v197, 0                                      // 000000004CD0: 7F8A0280
	s_mov_b64 exec, s[88:89]                                   // 000000004CD4: BEFE0158
	buffer_load_dword v197, v2, s[12:15], 0 idxen              // 000000004CD8: E0502000 8003C502
	s_mov_b64 exec, s[86:87]                                   // 000000004CE0: BEFE0156
	v_mov_b32_e32 v198, 0                                      // 000000004CE4: 7F8C0280
	s_mov_b64 exec, s[88:89]                                   // 000000004CE8: BEFE0158
	buffer_load_dword v198, v3, s[12:15], 0 idxen              // 000000004CEC: E0502000 8003C603
	s_mov_b64 exec, s[86:87]                                   // 000000004CF4: BEFE0156
	v_mov_b32_e32 v199, 0                                      // 000000004CF8: 7F8E0280
	s_mov_b64 exec, s[88:89]                                   // 000000004CFC: BEFE0158
	buffer_load_dword v199, v4, s[12:15], 0 idxen              // 000000004D00: E0502000 8003C704
	s_mov_b64 exec, s[86:87]                                   // 000000004D08: BEFE0156
	s_mul_i32 s60, 4, s6                                       // 000000004D0C: 923C0684
	s_cmp_lt_i32 3, s73                                        // 000000004D10: BF044983
	s_cselect_b32 s60, s60, 0                                  // 000000004D14: 853C803C
	v_add_u32_e32 v1, s60, v1                                  // 000000004D18: 6802023C
	v_add_u32_e32 v2, s60, v2                                  // 000000004D1C: 6804043C
	v_add_u32_e32 v3, s60, v3                                  // 000000004D20: 6806063C
	v_add_u32_e32 v4, s60, v4                                  // 000000004D24: 6808083C
	s_waitcnt vmcnt(32) lgkmcnt(0)                             // 000000004D28: BF8C8070
	s_barrier                                                  // 000000004D2C: BF8A0000
	s_cmp_lt_i32 0, s73                                        // 000000004D30: BF044980
	s_cbranch_scc1 label_03DE                                  // 000000004D34: BF850010
	v_mov_b32_e32 v152, 0                                      // 000000004D38: 7F300280
	v_mov_b32_e32 v153, 0                                      // 000000004D3C: 7F320280
	v_mov_b32_e32 v154, 0                                      // 000000004D40: 7F340280
	v_mov_b32_e32 v155, 0                                      // 000000004D44: 7F360280
	v_mov_b32_e32 v156, 0                                      // 000000004D48: 7F380280
	v_mov_b32_e32 v157, 0                                      // 000000004D4C: 7F3A0280
	v_mov_b32_e32 v158, 0                                      // 000000004D50: 7F3C0280
	v_mov_b32_e32 v159, 0                                      // 000000004D54: 7F3E0280
	v_mov_b32_e32 v160, 0                                      // 000000004D58: 7F400280
	v_mov_b32_e32 v161, 0                                      // 000000004D5C: 7F420280
	v_mov_b32_e32 v162, 0                                      // 000000004D60: 7F440280
	v_mov_b32_e32 v163, 0                                      // 000000004D64: 7F460280
	v_mov_b32_e32 v164, 0                                      // 000000004D68: 7F480280
	v_mov_b32_e32 v165, 0                                      // 000000004D6C: 7F4A0280
	v_mov_b32_e32 v166, 0                                      // 000000004D70: 7F4C0280
	v_mov_b32_e32 v167, 0                                      // 000000004D74: 7F4E0280

0000000000004d78 <label_03DE>:
	v_perm_b32 v200, v153, v152, s63                           // 000000004D78: D1ED00C8 00FF3199
	v_perm_b32 v201, v153, v152, s64                           // 000000004D80: D1ED00C9 01033199
	v_perm_b32 v202, v155, v154, s63                           // 000000004D88: D1ED00CA 00FF359B
	v_perm_b32 v203, v155, v154, s64                           // 000000004D90: D1ED00CB 0103359B
	v_perm_b32 v204, v157, v156, s63                           // 000000004D98: D1ED00CC 00FF399D
	v_perm_b32 v205, v157, v156, s64                           // 000000004DA0: D1ED00CD 0103399D
	v_perm_b32 v206, v159, v158, s63                           // 000000004DA8: D1ED00CE 00FF3D9F
	v_perm_b32 v207, v159, v158, s64                           // 000000004DB0: D1ED00CF 01033D9F
	v_perm_b32 v208, v161, v160, s63                           // 000000004DB8: D1ED00D0 00FF41A1
	v_perm_b32 v209, v161, v160, s64                           // 000000004DC0: D1ED00D1 010341A1
	v_perm_b32 v210, v163, v162, s63                           // 000000004DC8: D1ED00D2 00FF45A3
	v_perm_b32 v211, v163, v162, s64                           // 000000004DD0: D1ED00D3 010345A3
	v_perm_b32 v212, v165, v164, s63                           // 000000004DD8: D1ED00D4 00FF49A5
	v_perm_b32 v213, v165, v164, s64                           // 000000004DE0: D1ED00D5 010349A5
	v_perm_b32 v214, v167, v166, s63                           // 000000004DE8: D1ED00D6 00FF4DA7
	v_perm_b32 v215, v167, v166, s64                           // 000000004DF0: D1ED00D7 01034DA7
	ds_write_b32 v13, v200 offset:17408                        // 000000004DF8: D81A4400 0000C80D
	ds_write_b32 v13, v201 offset:18464                        // 000000004E00: D81A4820 0000C90D
	ds_write_b32 v13, v202 offset:17536                        // 000000004E08: D81A4480 0000CA0D
	ds_write_b32 v13, v203 offset:18592                        // 000000004E10: D81A48A0 0000CB0D
	ds_write_b32 v13, v204 offset:21760                        // 000000004E18: D81A5500 0000CC0D
	ds_write_b32 v13, v205 offset:22816                        // 000000004E20: D81A5920 0000CD0D
	ds_write_b32 v13, v206 offset:21888                        // 000000004E28: D81A5580 0000CE0D
	ds_write_b32 v13, v207 offset:22944                        // 000000004E30: D81A59A0 0000CF0D
	ds_write_b32 v13, v208 offset:26112                        // 000000004E38: D81A6600 0000D00D
	ds_write_b32 v13, v209 offset:27168                        // 000000004E40: D81A6A20 0000D10D
	ds_write_b32 v13, v210 offset:26240                        // 000000004E48: D81A6680 0000D20D
	ds_write_b32 v13, v211 offset:27296                        // 000000004E50: D81A6AA0 0000D30D
	ds_write_b32 v13, v212 offset:30464                        // 000000004E58: D81A7700 0000D40D
	ds_write_b32 v13, v213 offset:31520                        // 000000004E60: D81A7B20 0000D50D
	ds_write_b32 v13, v214 offset:30592                        // 000000004E68: D81A7780 0000D60D
	ds_write_b32 v13, v215 offset:31648                        // 000000004E70: D81A7BA0 0000D70D
	ds_write_b32 v11, v152                                     // 000000004E78: D81A0000 0000980B
	ds_write_b32 v11, v153 offset:1056                         // 000000004E80: D81A0420 0000990B
	ds_write_b32 v11, v154 offset:128                          // 000000004E88: D81A0080 00009A0B
	ds_write_b32 v11, v155 offset:1184                         // 000000004E90: D81A04A0 00009B0B
	ds_write_b32 v11, v156 offset:4352                         // 000000004E98: D81A1100 00009C0B
	ds_write_b32 v11, v157 offset:5408                         // 000000004EA0: D81A1520 00009D0B
	ds_write_b32 v11, v158 offset:4480                         // 000000004EA8: D81A1180 00009E0B
	ds_write_b32 v11, v159 offset:5536                         // 000000004EB0: D81A15A0 00009F0B
	ds_write_b32 v11, v160 offset:8704                         // 000000004EB8: D81A2200 0000A00B
	ds_write_b32 v11, v161 offset:9760                         // 000000004EC0: D81A2620 0000A10B
	ds_write_b32 v11, v162 offset:8832                         // 000000004EC8: D81A2280 0000A20B
	ds_write_b32 v11, v163 offset:9888                         // 000000004ED0: D81A26A0 0000A30B
	ds_write_b32 v11, v164 offset:13056                        // 000000004ED8: D81A3300 0000A40B
	ds_write_b32 v11, v165 offset:14112                        // 000000004EE0: D81A3720 0000A50B
	ds_write_b32 v11, v166 offset:13184                        // 000000004EE8: D81A3380 0000A60B
	ds_write_b32 v11, v167 offset:14240                        // 000000004EF0: D81A37A0 0000A70B
	v_mov_b32_e32 v152, 0                                      // 000000004EF8: 7F300280
	s_mov_b64 exec, s[88:89]                                   // 000000004EFC: BEFE0158
	buffer_load_dword v152, v252, s[16:19], 0 idxen            // 000000004F00: E0502000 800498FC
	s_mov_b64 exec, s[86:87]                                   // 000000004F08: BEFE0156
	v_mov_b32_e32 v153, 0                                      // 000000004F0C: 7F320280
	s_mov_b64 exec, s[88:89]                                   // 000000004F10: BEFE0158
	buffer_load_dword v153, v253, s[16:19], 0 idxen            // 000000004F14: E0502000 800499FD
	s_mov_b64 exec, s[86:87]                                   // 000000004F1C: BEFE0156
	v_mov_b32_e32 v154, 0                                      // 000000004F20: 7F340280
	s_mov_b64 exec, s[88:89]                                   // 000000004F24: BEFE0158
	buffer_load_dword v154, v254, s[16:19], 0 idxen            // 000000004F28: E0502000 80049AFE
	s_mov_b64 exec, s[86:87]                                   // 000000004F30: BEFE0156
	v_mov_b32_e32 v155, 0                                      // 000000004F34: 7F360280
	s_mov_b64 exec, s[88:89]                                   // 000000004F38: BEFE0158
	buffer_load_dword v155, v255, s[16:19], 0 idxen            // 000000004F3C: E0502000 80049BFF
	s_mov_b64 exec, s[86:87]                                   // 000000004F44: BEFE0156
	s_mul_i32 s60, 4, s7                                       // 000000004F48: 923C0784
	s_cmp_lt_i32 0, s73                                        // 000000004F4C: BF044980
	s_cselect_b32 s60, s60, 0                                  // 000000004F50: 853C803C
	v_add_u32_e32 v252, s60, v252                              // 000000004F54: 69F9F83C
	v_add_u32_e32 v253, s60, v253                              // 000000004F58: 69FBFA3C
	v_add_u32_e32 v254, s60, v254                              // 000000004F5C: 69FDFC3C
	v_add_u32_e32 v255, s60, v255                              // 000000004F60: 69FFFE3C
	v_mov_b32_e32 v156, 0                                      // 000000004F64: 7F380280
	s_mov_b64 exec, s[88:89]                                   // 000000004F68: BEFE0158
	buffer_load_dword v156, v252, s[16:19], 0 idxen            // 000000004F6C: E0502000 80049CFC
	s_mov_b64 exec, s[86:87]                                   // 000000004F74: BEFE0156
	v_mov_b32_e32 v157, 0                                      // 000000004F78: 7F3A0280
	s_mov_b64 exec, s[88:89]                                   // 000000004F7C: BEFE0158
	buffer_load_dword v157, v253, s[16:19], 0 idxen            // 000000004F80: E0502000 80049DFD
	s_mov_b64 exec, s[86:87]                                   // 000000004F88: BEFE0156
	v_mov_b32_e32 v158, 0                                      // 000000004F8C: 7F3C0280
	s_mov_b64 exec, s[88:89]                                   // 000000004F90: BEFE0158
	buffer_load_dword v158, v254, s[16:19], 0 idxen            // 000000004F94: E0502000 80049EFE
	s_mov_b64 exec, s[86:87]                                   // 000000004F9C: BEFE0156
	v_mov_b32_e32 v159, 0                                      // 000000004FA0: 7F3E0280
	s_mov_b64 exec, s[88:89]                                   // 000000004FA4: BEFE0158
	buffer_load_dword v159, v255, s[16:19], 0 idxen            // 000000004FA8: E0502000 80049FFF
	s_mov_b64 exec, s[86:87]                                   // 000000004FB0: BEFE0156
	s_mul_i32 s60, 4, s7                                       // 000000004FB4: 923C0784
	s_cmp_lt_i32 0, s73                                        // 000000004FB8: BF044980
	s_cselect_b32 s60, s60, 0                                  // 000000004FBC: 853C803C
	v_add_u32_e32 v252, s60, v252                              // 000000004FC0: 69F9F83C
	v_add_u32_e32 v253, s60, v253                              // 000000004FC4: 69FBFA3C
	v_add_u32_e32 v254, s60, v254                              // 000000004FC8: 69FDFC3C
	v_add_u32_e32 v255, s60, v255                              // 000000004FCC: 69FFFE3C
	v_mov_b32_e32 v160, 0                                      // 000000004FD0: 7F400280
	s_mov_b64 exec, s[88:89]                                   // 000000004FD4: BEFE0158
	buffer_load_dword v160, v252, s[16:19], 0 idxen            // 000000004FD8: E0502000 8004A0FC
	s_mov_b64 exec, s[86:87]                                   // 000000004FE0: BEFE0156
	v_mov_b32_e32 v161, 0                                      // 000000004FE4: 7F420280
	s_mov_b64 exec, s[88:89]                                   // 000000004FE8: BEFE0158
	buffer_load_dword v161, v253, s[16:19], 0 idxen            // 000000004FEC: E0502000 8004A1FD
	s_mov_b64 exec, s[86:87]                                   // 000000004FF4: BEFE0156
	v_mov_b32_e32 v162, 0                                      // 000000004FF8: 7F440280
	s_mov_b64 exec, s[88:89]                                   // 000000004FFC: BEFE0158
	buffer_load_dword v162, v254, s[16:19], 0 idxen            // 000000005000: E0502000 8004A2FE
	s_mov_b64 exec, s[86:87]                                   // 000000005008: BEFE0156
	v_mov_b32_e32 v163, 0                                      // 00000000500C: 7F460280
	s_mov_b64 exec, s[88:89]                                   // 000000005010: BEFE0158
	buffer_load_dword v163, v255, s[16:19], 0 idxen            // 000000005014: E0502000 8004A3FF
	s_mov_b64 exec, s[86:87]                                   // 00000000501C: BEFE0156
	s_mul_i32 s60, 4, s7                                       // 000000005020: 923C0784
	s_cmp_lt_i32 0, s73                                        // 000000005024: BF044980
	s_cselect_b32 s60, s60, 0                                  // 000000005028: 853C803C
	v_add_u32_e32 v252, s60, v252                              // 00000000502C: 69F9F83C
	v_add_u32_e32 v253, s60, v253                              // 000000005030: 69FBFA3C
	v_add_u32_e32 v254, s60, v254                              // 000000005034: 69FDFC3C
	v_add_u32_e32 v255, s60, v255                              // 000000005038: 69FFFE3C
	v_mov_b32_e32 v164, 0                                      // 00000000503C: 7F480280
	s_mov_b64 exec, s[88:89]                                   // 000000005040: BEFE0158
	buffer_load_dword v164, v252, s[16:19], 0 idxen            // 000000005044: E0502000 8004A4FC
	s_mov_b64 exec, s[86:87]                                   // 00000000504C: BEFE0156
	v_mov_b32_e32 v165, 0                                      // 000000005050: 7F4A0280
	s_mov_b64 exec, s[88:89]                                   // 000000005054: BEFE0158
	buffer_load_dword v165, v253, s[16:19], 0 idxen            // 000000005058: E0502000 8004A5FD
	s_mov_b64 exec, s[86:87]                                   // 000000005060: BEFE0156
	v_mov_b32_e32 v166, 0                                      // 000000005064: 7F4C0280
	s_mov_b64 exec, s[88:89]                                   // 000000005068: BEFE0158
	buffer_load_dword v166, v254, s[16:19], 0 idxen            // 00000000506C: E0502000 8004A6FE
	s_mov_b64 exec, s[86:87]                                   // 000000005074: BEFE0156
	v_mov_b32_e32 v167, 0                                      // 000000005078: 7F4E0280
	s_mov_b64 exec, s[88:89]                                   // 00000000507C: BEFE0158
	buffer_load_dword v167, v255, s[16:19], 0 idxen            // 000000005080: E0502000 8004A7FF
	s_mov_b64 exec, s[86:87]                                   // 000000005088: BEFE0156
	s_mul_i32 s60, 4, s7                                       // 00000000508C: 923C0784
	s_cmp_lt_i32 1, s73                                        // 000000005090: BF044981
	s_cselect_b32 s60, s60, 0                                  // 000000005094: 853C803C
	v_add_u32_e32 v252, s60, v252                              // 000000005098: 69F9F83C
	v_add_u32_e32 v253, s60, v253                              // 00000000509C: 69FBFA3C
	v_add_u32_e32 v254, s60, v254                              // 0000000050A0: 69FDFC3C
	v_add_u32_e32 v255, s60, v255                              // 0000000050A4: 69FFFE3C
	s_waitcnt lgkmcnt(0)                                       // 0000000050A8: BF8CC07F
	s_barrier                                                  // 0000000050AC: BF8A0000
	ds_read_b128 a[48:51], v23 offset:17408                    // 0000000050B0: DBFE4400 30000017
	ds_read_b128 a[52:55], v23 offset:17664                    // 0000000050B8: DBFE4500 34000017
	ds_read_b128 a[56:59], v23 offset:26112                    // 0000000050C0: DBFE6600 38000017
	ds_read_b128 a[60:63], v23 offset:26368                    // 0000000050C8: DBFE6700 3C000017
	ds_read_b128 a[0:3], v22                                   // 0000000050D0: DBFE0000 00000016
	ds_read_b128 a[4:7], v22 offset:512                        // 0000000050D8: DBFE0200 04000016
	ds_read_b128 a[8:11], v22 offset:2176                      // 0000000050E0: DBFE0880 08000016
	ds_read_b128 a[12:15], v22 offset:2688                     // 0000000050E8: DBFE0A80 0C000016
	s_waitcnt vmcnt(32) lgkmcnt(0)                             // 0000000050F0: BF8C8070
	s_barrier                                                  // 0000000050F4: BF8A0000
	s_cmp_lt_i32 1, s73                                        // 0000000050F8: BF044981
	s_cbranch_scc1 label_04D0                                  // 0000000050FC: BF850010
	v_mov_b32_e32 v168, 0                                      // 000000005100: 7F500280
	v_mov_b32_e32 v169, 0                                      // 000000005104: 7F520280
	v_mov_b32_e32 v170, 0                                      // 000000005108: 7F540280
	v_mov_b32_e32 v171, 0                                      // 00000000510C: 7F560280
	v_mov_b32_e32 v172, 0                                      // 000000005110: 7F580280
	v_mov_b32_e32 v173, 0                                      // 000000005114: 7F5A0280
	v_mov_b32_e32 v174, 0                                      // 000000005118: 7F5C0280
	v_mov_b32_e32 v175, 0                                      // 00000000511C: 7F5E0280
	v_mov_b32_e32 v176, 0                                      // 000000005120: 7F600280
	v_mov_b32_e32 v177, 0                                      // 000000005124: 7F620280
	v_mov_b32_e32 v178, 0                                      // 000000005128: 7F640280
	v_mov_b32_e32 v179, 0                                      // 00000000512C: 7F660280
	v_mov_b32_e32 v180, 0                                      // 000000005130: 7F680280
	v_mov_b32_e32 v181, 0                                      // 000000005134: 7F6A0280
	v_mov_b32_e32 v182, 0                                      // 000000005138: 7F6C0280
	v_mov_b32_e32 v183, 0                                      // 00000000513C: 7F6E0280

0000000000005140 <label_04D0>:
	v_perm_b32 v200, v169, v168, s63                           // 000000005140: D1ED00C8 00FF51A9
	v_perm_b32 v201, v169, v168, s64                           // 000000005148: D1ED00C9 010351A9
	v_perm_b32 v202, v171, v170, s63                           // 000000005150: D1ED00CA 00FF55AB
	v_perm_b32 v203, v171, v170, s64                           // 000000005158: D1ED00CB 010355AB
	v_perm_b32 v204, v173, v172, s63                           // 000000005160: D1ED00CC 00FF59AD
	v_perm_b32 v205, v173, v172, s64                           // 000000005168: D1ED00CD 010359AD
	v_perm_b32 v206, v175, v174, s63                           // 000000005170: D1ED00CE 00FF5DAF
	v_perm_b32 v207, v175, v174, s64                           // 000000005178: D1ED00CF 01035DAF
	v_perm_b32 v208, v177, v176, s63                           // 000000005180: D1ED00D0 00FF61B1
	v_perm_b32 v209, v177, v176, s64                           // 000000005188: D1ED00D1 010361B1
	v_perm_b32 v210, v179, v178, s63                           // 000000005190: D1ED00D2 00FF65B3
	v_perm_b32 v211, v179, v178, s64                           // 000000005198: D1ED00D3 010365B3
	v_perm_b32 v212, v181, v180, s63                           // 0000000051A0: D1ED00D4 00FF69B5
	v_perm_b32 v213, v181, v180, s64                           // 0000000051A8: D1ED00D5 010369B5
	v_perm_b32 v214, v183, v182, s63                           // 0000000051B0: D1ED00D6 00FF6DB7
	v_perm_b32 v215, v183, v182, s64                           // 0000000051B8: D1ED00D7 01036DB7
	ds_write_b32 v13, v200 offset:17408                        // 0000000051C0: D81A4400 0000C80D
	ds_write_b32 v13, v201 offset:18464                        // 0000000051C8: D81A4820 0000C90D
	ds_write_b32 v13, v202 offset:17536                        // 0000000051D0: D81A4480 0000CA0D
	ds_write_b32 v13, v203 offset:18592                        // 0000000051D8: D81A48A0 0000CB0D
	ds_write_b32 v13, v204 offset:21760                        // 0000000051E0: D81A5500 0000CC0D
	ds_write_b32 v13, v205 offset:22816                        // 0000000051E8: D81A5920 0000CD0D
	ds_write_b32 v13, v206 offset:21888                        // 0000000051F0: D81A5580 0000CE0D
	ds_write_b32 v13, v207 offset:22944                        // 0000000051F8: D81A59A0 0000CF0D
	ds_write_b32 v13, v208 offset:26112                        // 000000005200: D81A6600 0000D00D
	ds_write_b32 v13, v209 offset:27168                        // 000000005208: D81A6A20 0000D10D
	ds_write_b32 v13, v210 offset:26240                        // 000000005210: D81A6680 0000D20D
	ds_write_b32 v13, v211 offset:27296                        // 000000005218: D81A6AA0 0000D30D
	ds_write_b32 v13, v212 offset:30464                        // 000000005220: D81A7700 0000D40D
	ds_write_b32 v13, v213 offset:31520                        // 000000005228: D81A7B20 0000D50D
	ds_write_b32 v13, v214 offset:30592                        // 000000005230: D81A7780 0000D60D
	ds_write_b32 v13, v215 offset:31648                        // 000000005238: D81A7BA0 0000D70D
	ds_write_b32 v11, v168                                     // 000000005240: D81A0000 0000A80B
	ds_write_b32 v11, v169 offset:1056                         // 000000005248: D81A0420 0000A90B
	ds_write_b32 v11, v170 offset:128                          // 000000005250: D81A0080 0000AA0B
	ds_write_b32 v11, v171 offset:1184                         // 000000005258: D81A04A0 0000AB0B
	ds_write_b32 v11, v172 offset:4352                         // 000000005260: D81A1100 0000AC0B
	ds_write_b32 v11, v173 offset:5408                         // 000000005268: D81A1520 0000AD0B
	ds_write_b32 v11, v174 offset:4480                         // 000000005270: D81A1180 0000AE0B
	ds_write_b32 v11, v175 offset:5536                         // 000000005278: D81A15A0 0000AF0B
	ds_write_b32 v11, v176 offset:8704                         // 000000005280: D81A2200 0000B00B
	ds_write_b32 v11, v177 offset:9760                         // 000000005288: D81A2620 0000B10B
	ds_write_b32 v11, v178 offset:8832                         // 000000005290: D81A2280 0000B20B
	ds_write_b32 v11, v179 offset:9888                         // 000000005298: D81A26A0 0000B30B
	ds_write_b32 v11, v180 offset:13056                        // 0000000052A0: D81A3300 0000B40B
	ds_write_b32 v11, v181 offset:14112                        // 0000000052A8: D81A3720 0000B50B
	ds_write_b32 v11, v182 offset:13184                        // 0000000052B0: D81A3380 0000B60B
	ds_write_b32 v11, v183 offset:14240                        // 0000000052B8: D81A37A0 0000B70B
	v_mov_b32_e32 v168, 0                                      // 0000000052C0: 7F500280
	s_mov_b64 exec, s[88:89]                                   // 0000000052C4: BEFE0158
	buffer_load_dword v168, v252, s[16:19], 0 idxen            // 0000000052C8: E0502000 8004A8FC
	s_mov_b64 exec, s[86:87]                                   // 0000000052D0: BEFE0156
	v_mov_b32_e32 v169, 0                                      // 0000000052D4: 7F520280
	s_mov_b64 exec, s[88:89]                                   // 0000000052D8: BEFE0158
	buffer_load_dword v169, v253, s[16:19], 0 idxen            // 0000000052DC: E0502000 8004A9FD
	s_mov_b64 exec, s[86:87]                                   // 0000000052E4: BEFE0156
	v_mov_b32_e32 v170, 0                                      // 0000000052E8: 7F540280
	s_mov_b64 exec, s[88:89]                                   // 0000000052EC: BEFE0158
	buffer_load_dword v170, v254, s[16:19], 0 idxen            // 0000000052F0: E0502000 8004AAFE
	s_mov_b64 exec, s[86:87]                                   // 0000000052F8: BEFE0156
	v_mov_b32_e32 v171, 0                                      // 0000000052FC: 7F560280
	s_mov_b64 exec, s[88:89]                                   // 000000005300: BEFE0158
	buffer_load_dword v171, v255, s[16:19], 0 idxen            // 000000005304: E0502000 8004ABFF
	s_mov_b64 exec, s[86:87]                                   // 00000000530C: BEFE0156
	s_mul_i32 s60, 4, s7                                       // 000000005310: 923C0784
	s_cmp_lt_i32 1, s73                                        // 000000005314: BF044981
	s_cselect_b32 s60, s60, 0                                  // 000000005318: 853C803C
	v_add_u32_e32 v252, s60, v252                              // 00000000531C: 69F9F83C
	v_add_u32_e32 v253, s60, v253                              // 000000005320: 69FBFA3C
	v_add_u32_e32 v254, s60, v254                              // 000000005324: 69FDFC3C
	v_add_u32_e32 v255, s60, v255                              // 000000005328: 69FFFE3C
	v_mov_b32_e32 v172, 0                                      // 00000000532C: 7F580280
	s_mov_b64 exec, s[88:89]                                   // 000000005330: BEFE0158
	buffer_load_dword v172, v252, s[16:19], 0 idxen            // 000000005334: E0502000 8004ACFC
	s_mov_b64 exec, s[86:87]                                   // 00000000533C: BEFE0156
	v_mov_b32_e32 v173, 0                                      // 000000005340: 7F5A0280
	s_mov_b64 exec, s[88:89]                                   // 000000005344: BEFE0158
	buffer_load_dword v173, v253, s[16:19], 0 idxen            // 000000005348: E0502000 8004ADFD
	s_mov_b64 exec, s[86:87]                                   // 000000005350: BEFE0156
	v_mov_b32_e32 v174, 0                                      // 000000005354: 7F5C0280
	s_mov_b64 exec, s[88:89]                                   // 000000005358: BEFE0158
	buffer_load_dword v174, v254, s[16:19], 0 idxen            // 00000000535C: E0502000 8004AEFE
	s_mov_b64 exec, s[86:87]                                   // 000000005364: BEFE0156
	v_mov_b32_e32 v175, 0                                      // 000000005368: 7F5E0280
	s_mov_b64 exec, s[88:89]                                   // 00000000536C: BEFE0158
	buffer_load_dword v175, v255, s[16:19], 0 idxen            // 000000005370: E0502000 8004AFFF
	s_mov_b64 exec, s[86:87]                                   // 000000005378: BEFE0156
	s_mul_i32 s60, 4, s7                                       // 00000000537C: 923C0784
	s_cmp_lt_i32 1, s73                                        // 000000005380: BF044981
	s_cselect_b32 s60, s60, 0                                  // 000000005384: 853C803C
	v_add_u32_e32 v252, s60, v252                              // 000000005388: 69F9F83C
	v_add_u32_e32 v253, s60, v253                              // 00000000538C: 69FBFA3C
	v_add_u32_e32 v254, s60, v254                              // 000000005390: 69FDFC3C
	v_add_u32_e32 v255, s60, v255                              // 000000005394: 69FFFE3C
	v_mov_b32_e32 v176, 0                                      // 000000005398: 7F600280
	s_mov_b64 exec, s[88:89]                                   // 00000000539C: BEFE0158
	buffer_load_dword v176, v252, s[16:19], 0 idxen            // 0000000053A0: E0502000 8004B0FC
	s_mov_b64 exec, s[86:87]                                   // 0000000053A8: BEFE0156
	v_mov_b32_e32 v177, 0                                      // 0000000053AC: 7F620280
	s_mov_b64 exec, s[88:89]                                   // 0000000053B0: BEFE0158
	buffer_load_dword v177, v253, s[16:19], 0 idxen            // 0000000053B4: E0502000 8004B1FD
	s_mov_b64 exec, s[86:87]                                   // 0000000053BC: BEFE0156
	v_mov_b32_e32 v178, 0                                      // 0000000053C0: 7F640280
	s_mov_b64 exec, s[88:89]                                   // 0000000053C4: BEFE0158
	buffer_load_dword v178, v254, s[16:19], 0 idxen            // 0000000053C8: E0502000 8004B2FE
	s_mov_b64 exec, s[86:87]                                   // 0000000053D0: BEFE0156
	v_mov_b32_e32 v179, 0                                      // 0000000053D4: 7F660280
	s_mov_b64 exec, s[88:89]                                   // 0000000053D8: BEFE0158
	buffer_load_dword v179, v255, s[16:19], 0 idxen            // 0000000053DC: E0502000 8004B3FF
	s_mov_b64 exec, s[86:87]                                   // 0000000053E4: BEFE0156
	s_mul_i32 s60, 4, s7                                       // 0000000053E8: 923C0784
	s_cmp_lt_i32 1, s73                                        // 0000000053EC: BF044981
	s_cselect_b32 s60, s60, 0                                  // 0000000053F0: 853C803C
	v_add_u32_e32 v252, s60, v252                              // 0000000053F4: 69F9F83C
	v_add_u32_e32 v253, s60, v253                              // 0000000053F8: 69FBFA3C
	v_add_u32_e32 v254, s60, v254                              // 0000000053FC: 69FDFC3C
	v_add_u32_e32 v255, s60, v255                              // 000000005400: 69FFFE3C
	v_mov_b32_e32 v180, 0                                      // 000000005404: 7F680280
	s_mov_b64 exec, s[88:89]                                   // 000000005408: BEFE0158
	buffer_load_dword v180, v252, s[16:19], 0 idxen            // 00000000540C: E0502000 8004B4FC
	s_mov_b64 exec, s[86:87]                                   // 000000005414: BEFE0156
	v_mov_b32_e32 v181, 0                                      // 000000005418: 7F6A0280
	s_mov_b64 exec, s[88:89]                                   // 00000000541C: BEFE0158
	buffer_load_dword v181, v253, s[16:19], 0 idxen            // 000000005420: E0502000 8004B5FD
	s_mov_b64 exec, s[86:87]                                   // 000000005428: BEFE0156
	v_mov_b32_e32 v182, 0                                      // 00000000542C: 7F6C0280
	s_mov_b64 exec, s[88:89]                                   // 000000005430: BEFE0158
	buffer_load_dword v182, v254, s[16:19], 0 idxen            // 000000005434: E0502000 8004B6FE
	s_mov_b64 exec, s[86:87]                                   // 00000000543C: BEFE0156
	v_mov_b32_e32 v183, 0                                      // 000000005440: 7F6E0280
	s_mov_b64 exec, s[88:89]                                   // 000000005444: BEFE0158
	buffer_load_dword v183, v255, s[16:19], 0 idxen            // 000000005448: E0502000 8004B7FF
	s_mov_b64 exec, s[86:87]                                   // 000000005450: BEFE0156
	s_mul_i32 s60, 4, s7                                       // 000000005454: 923C0784
	s_cmp_lt_i32 2, s73                                        // 000000005458: BF044982
	s_cselect_b32 s60, s60, 0                                  // 00000000545C: 853C803C
	v_add_u32_e32 v252, s60, v252                              // 000000005460: 69F9F83C
	v_add_u32_e32 v253, s60, v253                              // 000000005464: 69FBFA3C
	v_add_u32_e32 v254, s60, v254                              // 000000005468: 69FDFC3C
	v_add_u32_e32 v255, s60, v255                              // 00000000546C: 69FFFE3C
	s_waitcnt lgkmcnt(0)                                       // 000000005470: BF8CC07F
	s_barrier                                                  // 000000005474: BF8A0000
	ds_read_b128 a[64:67], v23 offset:17408                    // 000000005478: DBFE4400 40000017
	ds_read_b128 a[68:71], v23 offset:17664                    // 000000005480: DBFE4500 44000017
	ds_read_b128 a[72:75], v23 offset:26112                    // 000000005488: DBFE6600 48000017
	ds_read_b128 a[76:79], v23 offset:26368                    // 000000005490: DBFE6700 4C000017
	ds_read_b128 a[16:19], v22                                 // 000000005498: DBFE0000 10000016
	ds_read_b128 a[20:23], v22 offset:512                      // 0000000054A0: DBFE0200 14000016
	ds_read_b128 a[24:27], v22 offset:2176                     // 0000000054A8: DBFE0880 18000016
	ds_read_b128 a[28:31], v22 offset:2688                     // 0000000054B0: DBFE0A80 1C000016
	s_waitcnt vmcnt(32) lgkmcnt(0)                             // 0000000054B8: BF8C8070
	s_barrier                                                  // 0000000054BC: BF8A0000
	s_cmp_lt_i32 2, s73                                        // 0000000054C0: BF044982
	s_cbranch_scc1 label_05C2                                  // 0000000054C4: BF850010
	v_mov_b32_e32 v184, 0                                      // 0000000054C8: 7F700280
	v_mov_b32_e32 v185, 0                                      // 0000000054CC: 7F720280
	v_mov_b32_e32 v186, 0                                      // 0000000054D0: 7F740280
	v_mov_b32_e32 v187, 0                                      // 0000000054D4: 7F760280
	v_mov_b32_e32 v188, 0                                      // 0000000054D8: 7F780280
	v_mov_b32_e32 v189, 0                                      // 0000000054DC: 7F7A0280
	v_mov_b32_e32 v190, 0                                      // 0000000054E0: 7F7C0280
	v_mov_b32_e32 v191, 0                                      // 0000000054E4: 7F7E0280
	v_mov_b32_e32 v192, 0                                      // 0000000054E8: 7F800280
	v_mov_b32_e32 v193, 0                                      // 0000000054EC: 7F820280
	v_mov_b32_e32 v194, 0                                      // 0000000054F0: 7F840280
	v_mov_b32_e32 v195, 0                                      // 0000000054F4: 7F860280
	v_mov_b32_e32 v196, 0                                      // 0000000054F8: 7F880280
	v_mov_b32_e32 v197, 0                                      // 0000000054FC: 7F8A0280
	v_mov_b32_e32 v198, 0                                      // 000000005500: 7F8C0280
	v_mov_b32_e32 v199, 0                                      // 000000005504: 7F8E0280

0000000000005508 <label_05C2>:
	v_perm_b32 v200, v185, v184, s63                           // 000000005508: D1ED00C8 00FF71B9
	v_perm_b32 v201, v185, v184, s64                           // 000000005510: D1ED00C9 010371B9
	v_perm_b32 v202, v187, v186, s63                           // 000000005518: D1ED00CA 00FF75BB
	v_perm_b32 v203, v187, v186, s64                           // 000000005520: D1ED00CB 010375BB
	v_perm_b32 v204, v189, v188, s63                           // 000000005528: D1ED00CC 00FF79BD
	v_perm_b32 v205, v189, v188, s64                           // 000000005530: D1ED00CD 010379BD
	v_perm_b32 v206, v191, v190, s63                           // 000000005538: D1ED00CE 00FF7DBF
	v_perm_b32 v207, v191, v190, s64                           // 000000005540: D1ED00CF 01037DBF
	v_perm_b32 v208, v193, v192, s63                           // 000000005548: D1ED00D0 00FF81C1
	v_perm_b32 v209, v193, v192, s64                           // 000000005550: D1ED00D1 010381C1
	v_perm_b32 v210, v195, v194, s63                           // 000000005558: D1ED00D2 00FF85C3
	v_perm_b32 v211, v195, v194, s64                           // 000000005560: D1ED00D3 010385C3
	v_perm_b32 v212, v197, v196, s63                           // 000000005568: D1ED00D4 00FF89C5
	v_perm_b32 v213, v197, v196, s64                           // 000000005570: D1ED00D5 010389C5
	v_perm_b32 v214, v199, v198, s63                           // 000000005578: D1ED00D6 00FF8DC7
	v_perm_b32 v215, v199, v198, s64                           // 000000005580: D1ED00D7 01038DC7
	ds_write_b32 v13, v200 offset:17408                        // 000000005588: D81A4400 0000C80D
	ds_write_b32 v13, v201 offset:18464                        // 000000005590: D81A4820 0000C90D
	ds_write_b32 v13, v202 offset:17536                        // 000000005598: D81A4480 0000CA0D
	ds_write_b32 v13, v203 offset:18592                        // 0000000055A0: D81A48A0 0000CB0D
	ds_write_b32 v13, v204 offset:21760                        // 0000000055A8: D81A5500 0000CC0D
	ds_write_b32 v13, v205 offset:22816                        // 0000000055B0: D81A5920 0000CD0D
	ds_write_b32 v13, v206 offset:21888                        // 0000000055B8: D81A5580 0000CE0D
	ds_write_b32 v13, v207 offset:22944                        // 0000000055C0: D81A59A0 0000CF0D
	ds_write_b32 v13, v208 offset:26112                        // 0000000055C8: D81A6600 0000D00D
	ds_write_b32 v13, v209 offset:27168                        // 0000000055D0: D81A6A20 0000D10D
	ds_write_b32 v13, v210 offset:26240                        // 0000000055D8: D81A6680 0000D20D
	ds_write_b32 v13, v211 offset:27296                        // 0000000055E0: D81A6AA0 0000D30D
	ds_write_b32 v13, v212 offset:30464                        // 0000000055E8: D81A7700 0000D40D
	ds_write_b32 v13, v213 offset:31520                        // 0000000055F0: D81A7B20 0000D50D
	ds_write_b32 v13, v214 offset:30592                        // 0000000055F8: D81A7780 0000D60D
	ds_write_b32 v13, v215 offset:31648                        // 000000005600: D81A7BA0 0000D70D
	ds_write_b32 v11, v184                                     // 000000005608: D81A0000 0000B80B
	ds_write_b32 v11, v185 offset:1056                         // 000000005610: D81A0420 0000B90B
	ds_write_b32 v11, v186 offset:128                          // 000000005618: D81A0080 0000BA0B
	ds_write_b32 v11, v187 offset:1184                         // 000000005620: D81A04A0 0000BB0B
	ds_write_b32 v11, v188 offset:4352                         // 000000005628: D81A1100 0000BC0B
	ds_write_b32 v11, v189 offset:5408                         // 000000005630: D81A1520 0000BD0B
	ds_write_b32 v11, v190 offset:4480                         // 000000005638: D81A1180 0000BE0B
	ds_write_b32 v11, v191 offset:5536                         // 000000005640: D81A15A0 0000BF0B
	ds_write_b32 v11, v192 offset:8704                         // 000000005648: D81A2200 0000C00B
	ds_write_b32 v11, v193 offset:9760                         // 000000005650: D81A2620 0000C10B
	ds_write_b32 v11, v194 offset:8832                         // 000000005658: D81A2280 0000C20B
	ds_write_b32 v11, v195 offset:9888                         // 000000005660: D81A26A0 0000C30B
	ds_write_b32 v11, v196 offset:13056                        // 000000005668: D81A3300 0000C40B
	ds_write_b32 v11, v197 offset:14112                        // 000000005670: D81A3720 0000C50B
	ds_write_b32 v11, v198 offset:13184                        // 000000005678: D81A3380 0000C60B
	ds_write_b32 v11, v199 offset:14240                        // 000000005680: D81A37A0 0000C70B
	v_mov_b32_e32 v184, 0                                      // 000000005688: 7F700280
	s_mov_b64 exec, s[88:89]                                   // 00000000568C: BEFE0158
	buffer_load_dword v184, v252, s[16:19], 0 idxen            // 000000005690: E0502000 8004B8FC
	s_mov_b64 exec, s[86:87]                                   // 000000005698: BEFE0156
	v_mov_b32_e32 v185, 0                                      // 00000000569C: 7F720280
	s_mov_b64 exec, s[88:89]                                   // 0000000056A0: BEFE0158
	buffer_load_dword v185, v253, s[16:19], 0 idxen            // 0000000056A4: E0502000 8004B9FD
	s_mov_b64 exec, s[86:87]                                   // 0000000056AC: BEFE0156
	v_mov_b32_e32 v186, 0                                      // 0000000056B0: 7F740280
	s_mov_b64 exec, s[88:89]                                   // 0000000056B4: BEFE0158
	buffer_load_dword v186, v254, s[16:19], 0 idxen            // 0000000056B8: E0502000 8004BAFE
	s_mov_b64 exec, s[86:87]                                   // 0000000056C0: BEFE0156
	v_mov_b32_e32 v187, 0                                      // 0000000056C4: 7F760280
	s_mov_b64 exec, s[88:89]                                   // 0000000056C8: BEFE0158
	buffer_load_dword v187, v255, s[16:19], 0 idxen            // 0000000056CC: E0502000 8004BBFF
	s_mov_b64 exec, s[86:87]                                   // 0000000056D4: BEFE0156
	s_mul_i32 s60, 4, s7                                       // 0000000056D8: 923C0784
	s_cmp_lt_i32 2, s73                                        // 0000000056DC: BF044982
	s_cselect_b32 s60, s60, 0                                  // 0000000056E0: 853C803C
	v_add_u32_e32 v252, s60, v252                              // 0000000056E4: 69F9F83C
	v_add_u32_e32 v253, s60, v253                              // 0000000056E8: 69FBFA3C
	v_add_u32_e32 v254, s60, v254                              // 0000000056EC: 69FDFC3C
	v_add_u32_e32 v255, s60, v255                              // 0000000056F0: 69FFFE3C
	v_mov_b32_e32 v188, 0                                      // 0000000056F4: 7F780280
	s_mov_b64 exec, s[88:89]                                   // 0000000056F8: BEFE0158
	buffer_load_dword v188, v252, s[16:19], 0 idxen            // 0000000056FC: E0502000 8004BCFC
	s_mov_b64 exec, s[86:87]                                   // 000000005704: BEFE0156
	v_mov_b32_e32 v189, 0                                      // 000000005708: 7F7A0280
	s_mov_b64 exec, s[88:89]                                   // 00000000570C: BEFE0158
	buffer_load_dword v189, v253, s[16:19], 0 idxen            // 000000005710: E0502000 8004BDFD
	s_mov_b64 exec, s[86:87]                                   // 000000005718: BEFE0156
	v_mov_b32_e32 v190, 0                                      // 00000000571C: 7F7C0280
	s_mov_b64 exec, s[88:89]                                   // 000000005720: BEFE0158
	buffer_load_dword v190, v254, s[16:19], 0 idxen            // 000000005724: E0502000 8004BEFE
	s_mov_b64 exec, s[86:87]                                   // 00000000572C: BEFE0156
	v_mov_b32_e32 v191, 0                                      // 000000005730: 7F7E0280
	s_mov_b64 exec, s[88:89]                                   // 000000005734: BEFE0158
	buffer_load_dword v191, v255, s[16:19], 0 idxen            // 000000005738: E0502000 8004BFFF
	s_mov_b64 exec, s[86:87]                                   // 000000005740: BEFE0156
	s_mul_i32 s60, 4, s7                                       // 000000005744: 923C0784
	s_cmp_lt_i32 2, s73                                        // 000000005748: BF044982
	s_cselect_b32 s60, s60, 0                                  // 00000000574C: 853C803C
	v_add_u32_e32 v252, s60, v252                              // 000000005750: 69F9F83C
	v_add_u32_e32 v253, s60, v253                              // 000000005754: 69FBFA3C
	v_add_u32_e32 v254, s60, v254                              // 000000005758: 69FDFC3C
	v_add_u32_e32 v255, s60, v255                              // 00000000575C: 69FFFE3C
	v_mov_b32_e32 v192, 0                                      // 000000005760: 7F800280
	s_mov_b64 exec, s[88:89]                                   // 000000005764: BEFE0158
	buffer_load_dword v192, v252, s[16:19], 0 idxen            // 000000005768: E0502000 8004C0FC
	s_mov_b64 exec, s[86:87]                                   // 000000005770: BEFE0156
	v_mov_b32_e32 v193, 0                                      // 000000005774: 7F820280
	s_mov_b64 exec, s[88:89]                                   // 000000005778: BEFE0158
	buffer_load_dword v193, v253, s[16:19], 0 idxen            // 00000000577C: E0502000 8004C1FD
	s_mov_b64 exec, s[86:87]                                   // 000000005784: BEFE0156
	v_mov_b32_e32 v194, 0                                      // 000000005788: 7F840280
	s_mov_b64 exec, s[88:89]                                   // 00000000578C: BEFE0158
	buffer_load_dword v194, v254, s[16:19], 0 idxen            // 000000005790: E0502000 8004C2FE
	s_mov_b64 exec, s[86:87]                                   // 000000005798: BEFE0156
	v_mov_b32_e32 v195, 0                                      // 00000000579C: 7F860280
	s_mov_b64 exec, s[88:89]                                   // 0000000057A0: BEFE0158
	buffer_load_dword v195, v255, s[16:19], 0 idxen            // 0000000057A4: E0502000 8004C3FF
	s_mov_b64 exec, s[86:87]                                   // 0000000057AC: BEFE0156
	s_mul_i32 s60, 4, s7                                       // 0000000057B0: 923C0784
	s_cmp_lt_i32 2, s73                                        // 0000000057B4: BF044982
	s_cselect_b32 s60, s60, 0                                  // 0000000057B8: 853C803C
	v_add_u32_e32 v252, s60, v252                              // 0000000057BC: 69F9F83C
	v_add_u32_e32 v253, s60, v253                              // 0000000057C0: 69FBFA3C
	v_add_u32_e32 v254, s60, v254                              // 0000000057C4: 69FDFC3C
	v_add_u32_e32 v255, s60, v255                              // 0000000057C8: 69FFFE3C
	v_mov_b32_e32 v196, 0                                      // 0000000057CC: 7F880280
	s_mov_b64 exec, s[88:89]                                   // 0000000057D0: BEFE0158
	buffer_load_dword v196, v252, s[16:19], 0 idxen            // 0000000057D4: E0502000 8004C4FC
	s_mov_b64 exec, s[86:87]                                   // 0000000057DC: BEFE0156
	v_mov_b32_e32 v197, 0                                      // 0000000057E0: 7F8A0280
	s_mov_b64 exec, s[88:89]                                   // 0000000057E4: BEFE0158
	buffer_load_dword v197, v253, s[16:19], 0 idxen            // 0000000057E8: E0502000 8004C5FD
	s_mov_b64 exec, s[86:87]                                   // 0000000057F0: BEFE0156
	v_mov_b32_e32 v198, 0                                      // 0000000057F4: 7F8C0280
	s_mov_b64 exec, s[88:89]                                   // 0000000057F8: BEFE0158
	buffer_load_dword v198, v254, s[16:19], 0 idxen            // 0000000057FC: E0502000 8004C6FE
	s_mov_b64 exec, s[86:87]                                   // 000000005804: BEFE0156
	v_mov_b32_e32 v199, 0                                      // 000000005808: 7F8E0280
	s_mov_b64 exec, s[88:89]                                   // 00000000580C: BEFE0158
	buffer_load_dword v199, v255, s[16:19], 0 idxen            // 000000005810: E0502000 8004C7FF
	s_mov_b64 exec, s[86:87]                                   // 000000005818: BEFE0156
	s_mul_i32 s60, 4, s7                                       // 00000000581C: 923C0784
	s_cmp_lt_i32 3, s73                                        // 000000005820: BF044983
	s_cselect_b32 s60, s60, 0                                  // 000000005824: 853C803C
	v_add_u32_e32 v252, s60, v252                              // 000000005828: 69F9F83C
	v_add_u32_e32 v253, s60, v253                              // 00000000582C: 69FBFA3C
	v_add_u32_e32 v254, s60, v254                              // 000000005830: 69FDFC3C
	v_add_u32_e32 v255, s60, v255                              // 000000005834: 69FFFE3C
	s_waitcnt lgkmcnt(0)                                       // 000000005838: BF8CC07F
	s_barrier                                                  // 00000000583C: BF8A0000
	ds_read_b128 a[80:83], v23 offset:17408                    // 000000005840: DBFE4400 50000017
	ds_read_b128 a[84:87], v23 offset:17664                    // 000000005848: DBFE4500 54000017
	ds_read_b128 a[88:91], v23 offset:26112                    // 000000005850: DBFE6600 58000017
	ds_read_b128 a[92:95], v23 offset:26368                    // 000000005858: DBFE6700 5C000017
	ds_read_b128 a[32:35], v22                                 // 000000005860: DBFE0000 20000016
	ds_read_b128 a[36:39], v22 offset:512                      // 000000005868: DBFE0200 24000016
	ds_read_b128 a[40:43], v22 offset:2176                     // 000000005870: DBFE0880 28000016
	ds_read_b128 a[44:47], v22 offset:2688                     // 000000005878: DBFE0A80 2C000016
	s_waitcnt vmcnt(32) lgkmcnt(0)                             // 000000005880: BF8C8070
	s_barrier                                                  // 000000005884: BF8A0000
	s_cmp_lt_i32 0, s73                                        // 000000005888: BF044980
	s_cbranch_scc1 label_06B4                                  // 00000000588C: BF850010
	v_mov_b32_e32 v152, 0                                      // 000000005890: 7F300280
	v_mov_b32_e32 v153, 0                                      // 000000005894: 7F320280
	v_mov_b32_e32 v154, 0                                      // 000000005898: 7F340280
	v_mov_b32_e32 v155, 0                                      // 00000000589C: 7F360280
	v_mov_b32_e32 v156, 0                                      // 0000000058A0: 7F380280
	v_mov_b32_e32 v157, 0                                      // 0000000058A4: 7F3A0280
	v_mov_b32_e32 v158, 0                                      // 0000000058A8: 7F3C0280
	v_mov_b32_e32 v159, 0                                      // 0000000058AC: 7F3E0280
	v_mov_b32_e32 v160, 0                                      // 0000000058B0: 7F400280
	v_mov_b32_e32 v161, 0                                      // 0000000058B4: 7F420280
	v_mov_b32_e32 v162, 0                                      // 0000000058B8: 7F440280
	v_mov_b32_e32 v163, 0                                      // 0000000058BC: 7F460280
	v_mov_b32_e32 v164, 0                                      // 0000000058C0: 7F480280
	v_mov_b32_e32 v165, 0                                      // 0000000058C4: 7F4A0280
	v_mov_b32_e32 v166, 0                                      // 0000000058C8: 7F4C0280
	v_mov_b32_e32 v167, 0                                      // 0000000058CC: 7F4E0280

00000000000058d0 <label_06B4>:
	ds_write_b32 v11, v152                                     // 0000000058D0: D81A0000 0000980B
	ds_write_b32 v11, v153 offset:1056                         // 0000000058D8: D81A0420 0000990B
	ds_write_b32 v11, v154 offset:128                          // 0000000058E0: D81A0080 00009A0B
	ds_write_b32 v11, v155 offset:1184                         // 0000000058E8: D81A04A0 00009B0B
	ds_write_b32 v11, v156 offset:4352                         // 0000000058F0: D81A1100 00009C0B
	ds_write_b32 v11, v157 offset:5408                         // 0000000058F8: D81A1520 00009D0B
	ds_write_b32 v11, v158 offset:4480                         // 000000005900: D81A1180 00009E0B
	ds_write_b32 v11, v159 offset:5536                         // 000000005908: D81A15A0 00009F0B
	ds_write_b32 v11, v160 offset:8704                         // 000000005910: D81A2200 0000A00B
	ds_write_b32 v11, v161 offset:9760                         // 000000005918: D81A2620 0000A10B
	ds_write_b32 v11, v162 offset:8832                         // 000000005920: D81A2280 0000A20B
	ds_write_b32 v11, v163 offset:9888                         // 000000005928: D81A26A0 0000A30B
	ds_write_b32 v11, v164 offset:13056                        // 000000005930: D81A3300 0000A40B
	ds_write_b32 v11, v165 offset:14112                        // 000000005938: D81A3720 0000A50B
	ds_write_b32 v11, v166 offset:13184                        // 000000005940: D81A3380 0000A60B
	ds_write_b32 v11, v167 offset:14240                        // 000000005948: D81A37A0 0000A70B
	s_mov_b32 s71, s5                                          // 000000005950: BEC70005
	v_lshrrev_b32_e32 v28, 4, v0                               // 000000005954: 20380084
	v_and_b32_e32 v29, 1, v28                                  // 000000005958: 263A3881
	v_lshlrev_b32_e32 v29, 1, v29                              // 00000000595C: 243A3A81
	v_mul_i32_i24_e32 v29, s71, v29                            // 000000005960: 0C3A3A47
	v_and_b32_e32 v30, 2, v28                                  // 000000005964: 263C3882
	v_lshlrev_b32_e32 v30, 5, v30                              // 000000005968: 243C3C85
	v_add_u32_e32 v29, v30, v29                                // 00000000596C: 683A3B1E
	v_and_b32_e32 v28, 15, v0                                  // 000000005970: 2638008F
	v_lshlrev_b32_e32 v28, 2, v28                              // 000000005974: 24383882
	v_add_u32_e32 v1, v28, v29                                 // 000000005978: 68023B1C
	s_and_b32 s60, 1, s46                                      // 00000000597C: 863C2E81
	s_mul_i32 s60, s60, s71                                    // 000000005980: 923C473C
	s_mul_i32 s60, s60, 8                                      // 000000005984: 923C883C
	s_lshr_b32 s61, s46, 1                                     // 000000005988: 8F3D812E
	s_mul_i32 s61, s61, 0x80                                   // 00000000598C: 923DFF3D 00000080
	s_add_u32 s60, s60, s61                                    // 000000005994: 803C3D3C
	v_add_u32_e32 v1, s60, v1                                  // 000000005998: 6802023C
	v_add_u32_e32 v2, s71, v1                                  // 00000000599C: 68040247
	s_mul_i32 s60, 4, s71                                      // 0000000059A0: 923C4784
	v_add_u32_e32 v3, s60, v1                                  // 0000000059A4: 6806023C
	v_add_u32_e32 v4, s60, v2                                  // 0000000059A8: 6808043C
	s_mov_b32 s71, s51                                         // 0000000059AC: BEC70033
	v_lshrrev_b32_e32 v28, 4, v0                               // 0000000059B0: 20380084
	v_and_b32_e32 v29, 1, v28                                  // 0000000059B4: 263A3881
	v_lshlrev_b32_e32 v29, 1, v29                              // 0000000059B8: 243A3A81
	v_mul_i32_i24_e32 v29, s71, v29                            // 0000000059BC: 0C3A3A47
	v_and_b32_e32 v30, 2, v28                                  // 0000000059C0: 263C3882
	v_lshlrev_b32_e32 v30, 5, v30                              // 0000000059C4: 243C3C85
	v_add_u32_e32 v29, v30, v29                                // 0000000059C8: 683A3B1E
	v_and_b32_e32 v28, 15, v0                                  // 0000000059CC: 2638008F
	v_lshlrev_b32_e32 v28, 2, v28                              // 0000000059D0: 24383882
	v_add_u32_e32 v252, v28, v29                               // 0000000059D4: 69F83B1C
	s_and_b32 s60, 1, s46                                      // 0000000059D8: 863C2E81
	s_mul_i32 s60, s60, s71                                    // 0000000059DC: 923C473C
	s_mul_i32 s60, s60, 8                                      // 0000000059E0: 923C883C
	s_lshr_b32 s61, s46, 1                                     // 0000000059E4: 8F3D812E
	s_mul_i32 s61, s61, 0x80                                   // 0000000059E8: 923DFF3D 00000080
	s_add_u32 s60, s60, s61                                    // 0000000059F0: 803C3D3C
	v_add_u32_e32 v252, s60, v252                              // 0000000059F4: 69F9F83C
	v_add_u32_e32 v253, s71, v252                              // 0000000059F8: 69FBF847
	s_mul_i32 s60, 4, s71                                      // 0000000059FC: 923C4784
	v_add_u32_e32 v254, s60, v252                              // 000000005A00: 69FDF83C
	v_add_u32_e32 v255, s60, v253                              // 000000005A04: 69FFFA3C
	v_lshrrev_b32_e32 v1, 2, v1                                // 000000005A08: 20020282
	v_lshrrev_b32_e32 v2, 2, v2                                // 000000005A0C: 20040482
	v_lshrrev_b32_e32 v3, 2, v3                                // 000000005A10: 20060682
	v_lshrrev_b32_e32 v4, 2, v4                                // 000000005A14: 20080882
	v_lshrrev_b32_e32 v252, 2, v252                            // 000000005A18: 21F9F882
	v_lshrrev_b32_e32 v253, 2, v253                            // 000000005A1C: 21FBFA82
	v_lshrrev_b32_e32 v254, 2, v254                            // 000000005A20: 21FDFC82
	v_lshrrev_b32_e32 v255, 2, v255                            // 000000005A24: 21FFFE82
	v_mov_b32_e32 v32, 0                                       // 000000005A28: 7E400280
	s_mov_b64 exec, s[88:89]                                   // 000000005A2C: BEFE0158
	buffer_load_dword v32, v1, s[8:11], 0 idxen                // 000000005A30: E0502000 80022001
	s_mov_b64 exec, s[86:87]                                   // 000000005A38: BEFE0156
	v_mov_b32_e32 v33, 0                                       // 000000005A3C: 7E420280
	s_mov_b64 exec, s[88:89]                                   // 000000005A40: BEFE0158
	buffer_load_dword v33, v2, s[8:11], 0 idxen                // 000000005A44: E0502000 80022102
	s_mov_b64 exec, s[86:87]                                   // 000000005A4C: BEFE0156
	v_mov_b32_e32 v34, 0                                       // 000000005A50: 7E440280
	s_mov_b64 exec, s[88:89]                                   // 000000005A54: BEFE0158
	buffer_load_dword v34, v3, s[8:11], 0 idxen                // 000000005A58: E0502000 80022203
	s_mov_b64 exec, s[86:87]                                   // 000000005A60: BEFE0156
	v_mov_b32_e32 v35, 0                                       // 000000005A64: 7E460280
	s_mov_b64 exec, s[88:89]                                   // 000000005A68: BEFE0158
	buffer_load_dword v35, v4, s[8:11], 0 idxen                // 000000005A6C: E0502000 80022304
	s_mov_b64 exec, s[86:87]                                   // 000000005A74: BEFE0156
	v_mov_b32_e32 v40, 0                                       // 000000005A78: 7E500280
	s_mov_b64 exec, s[88:89]                                   // 000000005A7C: BEFE0158
	buffer_load_dword v40, v252, s[20:23], 0 idxen             // 000000005A80: E0502000 800528FC
	s_mov_b64 exec, s[86:87]                                   // 000000005A88: BEFE0156
	v_mov_b32_e32 v41, 0                                       // 000000005A8C: 7E520280
	s_mov_b64 exec, s[88:89]                                   // 000000005A90: BEFE0158
	buffer_load_dword v41, v253, s[20:23], 0 idxen             // 000000005A94: E0502000 800529FD
	s_mov_b64 exec, s[86:87]                                   // 000000005A9C: BEFE0156
	v_mov_b32_e32 v42, 0                                       // 000000005AA0: 7E540280
	s_mov_b64 exec, s[88:89]                                   // 000000005AA4: BEFE0158
	buffer_load_dword v42, v254, s[20:23], 0 idxen             // 000000005AA8: E0502000 80052AFE
	s_mov_b64 exec, s[86:87]                                   // 000000005AB0: BEFE0156
	v_mov_b32_e32 v43, 0                                       // 000000005AB4: 7E560280
	s_mov_b64 exec, s[88:89]                                   // 000000005AB8: BEFE0158
	buffer_load_dword v43, v255, s[20:23], 0 idxen             // 000000005ABC: E0502000 80052BFF
	s_mov_b64 exec, s[86:87]                                   // 000000005AC4: BEFE0156
	s_waitcnt lgkmcnt(0)                                       // 000000005AC8: BF8CC07F
	s_barrier                                                  // 000000005ACC: BF8A0000
	ds_read_b128 a[96:99], v22                                 // 000000005AD0: DBFE0000 60000016
	ds_read_b128 a[100:103], v22 offset:512                    // 000000005AD8: DBFE0200 64000016
	ds_read_b128 a[104:107], v22 offset:2176                   // 000000005AE0: DBFE0880 68000016
	ds_read_b128 a[108:111], v22 offset:2688                   // 000000005AE8: DBFE0A80 6C000016
	v_add_u32_e32 v1, s68, v1                                  // 000000005AF0: 68020244
	v_add_u32_e32 v2, s68, v2                                  // 000000005AF4: 68040444
	v_add_u32_e32 v3, s68, v3                                  // 000000005AF8: 68060644
	v_add_u32_e32 v4, s68, v4                                  // 000000005AFC: 68080844
	v_add_u32_e32 v252, s97, v252                              // 000000005B00: 69F9F861
	v_add_u32_e32 v253, s97, v253                              // 000000005B04: 69FBFA61
	v_add_u32_e32 v254, s97, v254                              // 000000005B08: 69FDFC61
	v_add_u32_e32 v255, s97, v255                              // 000000005B0C: 69FFFE61
	s_waitcnt vmcnt(24) lgkmcnt(0)                             // 000000005B10: BF8C4078
	s_barrier                                                  // 000000005B14: BF8A0000
	s_cmp_lt_i32 1, s73                                        // 000000005B18: BF044981
	s_cbranch_scc1 label_0758                                  // 000000005B1C: BF850010
	v_mov_b32_e32 v168, 0                                      // 000000005B20: 7F500280
	v_mov_b32_e32 v169, 0                                      // 000000005B24: 7F520280
	v_mov_b32_e32 v170, 0                                      // 000000005B28: 7F540280
	v_mov_b32_e32 v171, 0                                      // 000000005B2C: 7F560280
	v_mov_b32_e32 v172, 0                                      // 000000005B30: 7F580280
	v_mov_b32_e32 v173, 0                                      // 000000005B34: 7F5A0280
	v_mov_b32_e32 v174, 0                                      // 000000005B38: 7F5C0280
	v_mov_b32_e32 v175, 0                                      // 000000005B3C: 7F5E0280
	v_mov_b32_e32 v176, 0                                      // 000000005B40: 7F600280
	v_mov_b32_e32 v177, 0                                      // 000000005B44: 7F620280
	v_mov_b32_e32 v178, 0                                      // 000000005B48: 7F640280
	v_mov_b32_e32 v179, 0                                      // 000000005B4C: 7F660280
	v_mov_b32_e32 v180, 0                                      // 000000005B50: 7F680280
	v_mov_b32_e32 v181, 0                                      // 000000005B54: 7F6A0280
	v_mov_b32_e32 v182, 0                                      // 000000005B58: 7F6C0280
	v_mov_b32_e32 v183, 0                                      // 000000005B5C: 7F6E0280

0000000000005b60 <label_0758>:
	ds_write_b32 v11, v168                                     // 000000005B60: D81A0000 0000A80B
	ds_write_b32 v11, v169 offset:1056                         // 000000005B68: D81A0420 0000A90B
	ds_write_b32 v11, v170 offset:128                          // 000000005B70: D81A0080 0000AA0B
	ds_write_b32 v11, v171 offset:1184                         // 000000005B78: D81A04A0 0000AB0B
	ds_write_b32 v11, v172 offset:4352                         // 000000005B80: D81A1100 0000AC0B
	ds_write_b32 v11, v173 offset:5408                         // 000000005B88: D81A1520 0000AD0B
	ds_write_b32 v11, v174 offset:4480                         // 000000005B90: D81A1180 0000AE0B
	ds_write_b32 v11, v175 offset:5536                         // 000000005B98: D81A15A0 0000AF0B
	ds_write_b32 v11, v176 offset:8704                         // 000000005BA0: D81A2200 0000B00B
	ds_write_b32 v11, v177 offset:9760                         // 000000005BA8: D81A2620 0000B10B
	ds_write_b32 v11, v178 offset:8832                         // 000000005BB0: D81A2280 0000B20B
	ds_write_b32 v11, v179 offset:9888                         // 000000005BB8: D81A26A0 0000B30B
	ds_write_b32 v11, v180 offset:13056                        // 000000005BC0: D81A3300 0000B40B
	ds_write_b32 v11, v181 offset:14112                        // 000000005BC8: D81A3720 0000B50B
	ds_write_b32 v11, v182 offset:13184                        // 000000005BD0: D81A3380 0000B60B
	ds_write_b32 v11, v183 offset:14240                        // 000000005BD8: D81A37A0 0000B70B
	v_mov_b32_e32 v36, 0                                       // 000000005BE0: 7E480280
	s_mov_b64 exec, s[88:89]                                   // 000000005BE4: BEFE0158
	buffer_load_dword v36, v1, s[8:11], 0 idxen                // 000000005BE8: E0502000 80022401
	s_mov_b64 exec, s[86:87]                                   // 000000005BF0: BEFE0156
	v_mov_b32_e32 v37, 0                                       // 000000005BF4: 7E4A0280
	s_mov_b64 exec, s[88:89]                                   // 000000005BF8: BEFE0158
	buffer_load_dword v37, v2, s[8:11], 0 idxen                // 000000005BFC: E0502000 80022502
	s_mov_b64 exec, s[86:87]                                   // 000000005C04: BEFE0156
	v_mov_b32_e32 v38, 0                                       // 000000005C08: 7E4C0280
	s_mov_b64 exec, s[88:89]                                   // 000000005C0C: BEFE0158
	buffer_load_dword v38, v3, s[8:11], 0 idxen                // 000000005C10: E0502000 80022603
	s_mov_b64 exec, s[86:87]                                   // 000000005C18: BEFE0156
	v_mov_b32_e32 v39, 0                                       // 000000005C1C: 7E4E0280
	s_mov_b64 exec, s[88:89]                                   // 000000005C20: BEFE0158
	buffer_load_dword v39, v4, s[8:11], 0 idxen                // 000000005C24: E0502000 80022704
	s_mov_b64 exec, s[86:87]                                   // 000000005C2C: BEFE0156
	v_mov_b32_e32 v44, 0                                       // 000000005C30: 7E580280
	s_mov_b64 exec, s[88:89]                                   // 000000005C34: BEFE0158
	buffer_load_dword v44, v252, s[20:23], 0 idxen             // 000000005C38: E0502000 80052CFC
	s_mov_b64 exec, s[86:87]                                   // 000000005C40: BEFE0156
	v_mov_b32_e32 v45, 0                                       // 000000005C44: 7E5A0280
	s_mov_b64 exec, s[88:89]                                   // 000000005C48: BEFE0158
	buffer_load_dword v45, v253, s[20:23], 0 idxen             // 000000005C4C: E0502000 80052DFD
	s_mov_b64 exec, s[86:87]                                   // 000000005C54: BEFE0156
	v_mov_b32_e32 v46, 0                                       // 000000005C58: 7E5C0280
	s_mov_b64 exec, s[88:89]                                   // 000000005C5C: BEFE0158
	buffer_load_dword v46, v254, s[20:23], 0 idxen             // 000000005C60: E0502000 80052EFE
	s_mov_b64 exec, s[86:87]                                   // 000000005C68: BEFE0156
	v_mov_b32_e32 v47, 0                                       // 000000005C6C: 7E5E0280
	s_mov_b64 exec, s[88:89]                                   // 000000005C70: BEFE0158
	buffer_load_dword v47, v255, s[20:23], 0 idxen             // 000000005C74: E0502000 80052FFF
	s_mov_b64 exec, s[86:87]                                   // 000000005C7C: BEFE0156
	s_waitcnt lgkmcnt(0)                                       // 000000005C80: BF8CC07F
	s_barrier                                                  // 000000005C84: BF8A0000
	ds_read_b128 a[112:115], v22                               // 000000005C88: DBFE0000 70000016
	ds_read_b128 a[116:119], v22 offset:512                    // 000000005C90: DBFE0200 74000016
	ds_read_b128 a[120:123], v22 offset:2176                   // 000000005C98: DBFE0880 78000016
	ds_read_b128 a[124:127], v22 offset:2688                   // 000000005CA0: DBFE0A80 7C000016
	v_add_u32_e32 v1, s68, v1                                  // 000000005CA8: 68020244
	v_add_u32_e32 v2, s68, v2                                  // 000000005CAC: 68040444
	v_add_u32_e32 v3, s68, v3                                  // 000000005CB0: 68060644
	v_add_u32_e32 v4, s68, v4                                  // 000000005CB4: 68080844
	v_add_u32_e32 v252, s97, v252                              // 000000005CB8: 69F9F861
	v_add_u32_e32 v253, s97, v253                              // 000000005CBC: 69FBFA61
	v_add_u32_e32 v254, s97, v254                              // 000000005CC0: 69FDFC61
	v_add_u32_e32 v255, s97, v255                              // 000000005CC4: 69FFFE61
	s_waitcnt vmcnt(16) lgkmcnt(0)                             // 000000005CC8: BF8C4070
	s_barrier                                                  // 000000005CCC: BF8A0000
	s_cmp_lt_i32 2, s73                                        // 000000005CD0: BF044982
	s_cbranch_scc1 label_07C6                                  // 000000005CD4: BF850010
	v_mov_b32_e32 v184, 0                                      // 000000005CD8: 7F700280
	v_mov_b32_e32 v185, 0                                      // 000000005CDC: 7F720280
	v_mov_b32_e32 v186, 0                                      // 000000005CE0: 7F740280
	v_mov_b32_e32 v187, 0                                      // 000000005CE4: 7F760280
	v_mov_b32_e32 v188, 0                                      // 000000005CE8: 7F780280
	v_mov_b32_e32 v189, 0                                      // 000000005CEC: 7F7A0280
	v_mov_b32_e32 v190, 0                                      // 000000005CF0: 7F7C0280
	v_mov_b32_e32 v191, 0                                      // 000000005CF4: 7F7E0280
	v_mov_b32_e32 v192, 0                                      // 000000005CF8: 7F800280
	v_mov_b32_e32 v193, 0                                      // 000000005CFC: 7F820280
	v_mov_b32_e32 v194, 0                                      // 000000005D00: 7F840280
	v_mov_b32_e32 v195, 0                                      // 000000005D04: 7F860280
	v_mov_b32_e32 v196, 0                                      // 000000005D08: 7F880280
	v_mov_b32_e32 v197, 0                                      // 000000005D0C: 7F8A0280
	v_mov_b32_e32 v198, 0                                      // 000000005D10: 7F8C0280
	v_mov_b32_e32 v199, 0                                      // 000000005D14: 7F8E0280

0000000000005d18 <label_07C6>:
	ds_write_b32 v11, v184                                     // 000000005D18: D81A0000 0000B80B
	ds_write_b32 v11, v185 offset:1056                         // 000000005D20: D81A0420 0000B90B
	ds_write_b32 v11, v186 offset:128                          // 000000005D28: D81A0080 0000BA0B
	ds_write_b32 v11, v187 offset:1184                         // 000000005D30: D81A04A0 0000BB0B
	ds_write_b32 v11, v188 offset:4352                         // 000000005D38: D81A1100 0000BC0B
	ds_write_b32 v11, v189 offset:5408                         // 000000005D40: D81A1520 0000BD0B
	ds_write_b32 v11, v190 offset:4480                         // 000000005D48: D81A1180 0000BE0B
	ds_write_b32 v11, v191 offset:5536                         // 000000005D50: D81A15A0 0000BF0B
	ds_write_b32 v11, v192 offset:8704                         // 000000005D58: D81A2200 0000C00B
	ds_write_b32 v11, v193 offset:9760                         // 000000005D60: D81A2620 0000C10B
	ds_write_b32 v11, v194 offset:8832                         // 000000005D68: D81A2280 0000C20B
	ds_write_b32 v11, v195 offset:9888                         // 000000005D70: D81A26A0 0000C30B
	ds_write_b32 v11, v196 offset:13056                        // 000000005D78: D81A3300 0000C40B
	ds_write_b32 v11, v197 offset:14112                        // 000000005D80: D81A3720 0000C50B
	ds_write_b32 v11, v198 offset:13184                        // 000000005D88: D81A3380 0000C60B
	ds_write_b32 v11, v199 offset:14240                        // 000000005D90: D81A37A0 0000C70B
	s_waitcnt lgkmcnt(0)                                       // 000000005D98: BF8CC07F
	s_barrier                                                  // 000000005D9C: BF8A0000
	ds_read_b128 a[128:131], v22                               // 000000005DA0: DBFE0000 80000016
	ds_read_b128 a[132:135], v22 offset:512                    // 000000005DA8: DBFE0200 84000016
	ds_read_b128 a[136:139], v22 offset:2176                   // 000000005DB0: DBFE0880 88000016
	ds_read_b128 a[140:143], v22 offset:2688                   // 000000005DB8: DBFE0A80 8C000016
	s_waitcnt vmcnt(8) lgkmcnt(0)                              // 000000005DC0: BF8C0078
	s_barrier                                                  // 000000005DC4: BF8A0000
	buffer_load_dword v9, s[24:27], 0 idxen lds                // 000000005DC8: E0512000 80060009
	s_mov_b32 m0, s77                                          // 000000005DD0: BEFC004D
	v_add_u32_e32 v9, s69, v9                                  // 000000005DD4: 68121245
	v_perm_b32 v84, v33, v32, s63                              // 000000005DD8: D1ED0054 00FE4121
	v_perm_b32 v85, v33, v32, s64                              // 000000005DE0: D1ED0055 01024121
	v_perm_b32 v86, v35, v34, s63                              // 000000005DE8: D1ED0056 00FE4523
	v_perm_b32 v87, v35, v34, s64                              // 000000005DF0: D1ED0057 01024523
	ds_write_b32 v13, v84 offset:4352                          // 000000005DF8: D81A1100 0000540D
	ds_write_b32 v13, v85 offset:5408                          // 000000005E00: D81A1520 0000550D
	ds_write_b32 v13, v86 offset:4480                          // 000000005E08: D81A1180 0000560D
	ds_write_b32 v13, v87 offset:5536                          // 000000005E10: D81A15A0 0000570D
	ds_write_b32 v11, v32                                      // 000000005E18: D81A0000 0000200B
	ds_write_b32 v11, v33 offset:1056                          // 000000005E20: D81A0420 0000210B
	ds_write_b32 v11, v34 offset:128                           // 000000005E28: D81A0080 0000220B
	ds_write_b32 v11, v35 offset:1184                          // 000000005E30: D81A04A0 0000230B
	buffer_load_dword v9, s[24:27], 0 idxen lds                // 000000005E38: E0512000 80060009
	s_mov_b32 m0, s76                                          // 000000005E40: BEFC004C
	v_add_u32_e32 v9, s69, v9                                  // 000000005E44: 68121245
	v_perm_b32 v88, v41, v40, s63                              // 000000005E48: D1ED0058 00FE5129
	v_perm_b32 v89, v41, v40, s64                              // 000000005E50: D1ED0059 01025129
	v_perm_b32 v90, v43, v42, s63                              // 000000005E58: D1ED005A 00FE552B
	v_perm_b32 v91, v43, v42, s64                              // 000000005E60: D1ED005B 0102552B
	ds_write_b32 v13, v88 offset:13056                         // 000000005E68: D81A3300 0000580D
	ds_write_b32 v13, v89 offset:14112                         // 000000005E70: D81A3720 0000590D
	ds_write_b32 v13, v90 offset:13184                         // 000000005E78: D81A3380 00005A0D
	ds_write_b32 v13, v91 offset:14240                         // 000000005E80: D81A37A0 00005B0D
	ds_write_b32 v11, v40 offset:8704                          // 000000005E88: D81A2200 0000280B
	ds_write_b32 v11, v41 offset:9760                          // 000000005E90: D81A2620 0000290B
	ds_write_b32 v11, v42 offset:8832                          // 000000005E98: D81A2280 00002A0B
	ds_write_b32 v11, v43 offset:9888                          // 000000005EA0: D81A26A0 00002B0B
	s_waitcnt vmcnt(1) lgkmcnt(0)                              // 000000005EA8: BF8C0071
	s_barrier                                                  // 000000005EAC: BF8A0000
	ds_read_b128 a[144:147], v10                               // 000000005EB0: DBFE0000 9000000A
	ds_read_b128 a[148:151], v10 offset:512                    // 000000005EB8: DBFE0200 9400000A
	ds_read_b128 a[152:155], v10 offset:2176                   // 000000005EC0: DBFE0880 9800000A
	ds_read_b128 a[156:159], v10 offset:2688                   // 000000005EC8: DBFE0A80 9C00000A
	ds_read_b128 v[92:95], v10 offset:8704                     // 000000005ED0: D9FE2200 5C00000A
	ds_read_b128 v[96:99], v10 offset:9216                     // 000000005ED8: D9FE2400 6000000A
	ds_read_b128 v[100:103], v10 offset:10880                  // 000000005EE0: D9FE2A80 6400000A
	ds_read_b128 v[104:107], v10 offset:11392                  // 000000005EE8: D9FE2C80 6800000A
	ds_read_b32 v124, v21 offset:50688                         // 000000005EF0: D86CC600 7C000015
	ds_read_b32 v150, v21 offset:50944                         // 000000005EF8: D86CC700 96000015
	v_accvgpr_write_b32 a160, 0                                // 000000005F00: D3D940A0 18000080
	v_mov_b32_e32 v152, 0                                      // 000000005F08: 7F300280
	v_accvgpr_write_b32 a161, 0                                // 000000005F0C: D3D940A1 18000080
	v_mov_b32_e32 v153, 0                                      // 000000005F14: 7F320280
	v_accvgpr_write_b32 a162, 0                                // 000000005F18: D3D940A2 18000080
	v_mov_b32_e32 v154, 0                                      // 000000005F20: 7F340280
	v_accvgpr_write_b32 a163, 0                                // 000000005F24: D3D940A3 18000080
	v_mov_b32_e32 v155, 0                                      // 000000005F2C: 7F360280
	v_accvgpr_write_b32 a164, 0                                // 000000005F30: D3D940A4 18000080
	v_mov_b32_e32 v156, 0                                      // 000000005F38: 7F380280
	v_accvgpr_write_b32 a165, 0                                // 000000005F3C: D3D940A5 18000080
	v_mov_b32_e32 v157, 0                                      // 000000005F44: 7F3A0280
	v_accvgpr_write_b32 a166, 0                                // 000000005F48: D3D940A6 18000080
	v_mov_b32_e32 v158, 0                                      // 000000005F50: 7F3C0280
	v_accvgpr_write_b32 a167, 0                                // 000000005F54: D3D940A7 18000080
	v_mov_b32_e32 v159, 0                                      // 000000005F5C: 7F3E0280
	v_accvgpr_write_b32 a168, 0                                // 000000005F60: D3D940A8 18000080
	v_mov_b32_e32 v160, 0                                      // 000000005F68: 7F400280
	v_accvgpr_write_b32 a169, 0                                // 000000005F6C: D3D940A9 18000080
	v_mov_b32_e32 v161, 0                                      // 000000005F74: 7F420280
	v_accvgpr_write_b32 a170, 0                                // 000000005F78: D3D940AA 18000080
	v_mov_b32_e32 v162, 0                                      // 000000005F80: 7F440280
	v_accvgpr_write_b32 a171, 0                                // 000000005F84: D3D940AB 18000080
	v_mov_b32_e32 v163, 0                                      // 000000005F8C: 7F460280
	v_accvgpr_write_b32 a172, 0                                // 000000005F90: D3D940AC 18000080
	v_mov_b32_e32 v164, 0                                      // 000000005F98: 7F480280
	v_accvgpr_write_b32 a173, 0                                // 000000005F9C: D3D940AD 18000080
	v_mov_b32_e32 v165, 0                                      // 000000005FA4: 7F4A0280
	v_accvgpr_write_b32 a174, 0                                // 000000005FA8: D3D940AE 18000080
	v_mov_b32_e32 v166, 0                                      // 000000005FB0: 7F4C0280
	v_accvgpr_write_b32 a175, 0                                // 000000005FB4: D3D940AF 18000080
	v_mov_b32_e32 v167, 0                                      // 000000005FBC: 7F4E0280
	v_accvgpr_write_b32 a176, 0                                // 000000005FC0: D3D940B0 18000080
	v_mov_b32_e32 v168, 0                                      // 000000005FC8: 7F500280
	v_accvgpr_write_b32 a177, 0                                // 000000005FCC: D3D940B1 18000080
	v_mov_b32_e32 v169, 0                                      // 000000005FD4: 7F520280
	v_accvgpr_write_b32 a178, 0                                // 000000005FD8: D3D940B2 18000080
	v_mov_b32_e32 v170, 0                                      // 000000005FE0: 7F540280
	v_accvgpr_write_b32 a179, 0                                // 000000005FE4: D3D940B3 18000080
	v_mov_b32_e32 v171, 0                                      // 000000005FEC: 7F560280
	v_accvgpr_write_b32 a180, 0                                // 000000005FF0: D3D940B4 18000080
	v_mov_b32_e32 v172, 0                                      // 000000005FF8: 7F580280
	v_accvgpr_write_b32 a181, 0                                // 000000005FFC: D3D940B5 18000080
	v_mov_b32_e32 v173, 0                                      // 000000006004: 7F5A0280
	v_accvgpr_write_b32 a182, 0                                // 000000006008: D3D940B6 18000080
	v_mov_b32_e32 v174, 0                                      // 000000006010: 7F5C0280
	v_accvgpr_write_b32 a183, 0                                // 000000006014: D3D940B7 18000080
	v_mov_b32_e32 v175, 0                                      // 00000000601C: 7F5E0280
	v_accvgpr_write_b32 a184, 0                                // 000000006020: D3D940B8 18000080
	v_mov_b32_e32 v176, 0                                      // 000000006028: 7F600280
	v_accvgpr_write_b32 a185, 0                                // 00000000602C: D3D940B9 18000080
	v_mov_b32_e32 v177, 0                                      // 000000006034: 7F620280
	v_accvgpr_write_b32 a186, 0                                // 000000006038: D3D940BA 18000080
	v_mov_b32_e32 v178, 0                                      // 000000006040: 7F640280
	v_accvgpr_write_b32 a187, 0                                // 000000006044: D3D940BB 18000080
	v_mov_b32_e32 v179, 0                                      // 00000000604C: 7F660280
	v_accvgpr_write_b32 a188, 0                                // 000000006050: D3D940BC 18000080
	v_mov_b32_e32 v180, 0                                      // 000000006058: 7F680280
	v_accvgpr_write_b32 a189, 0                                // 00000000605C: D3D940BD 18000080
	v_mov_b32_e32 v181, 0                                      // 000000006064: 7F6A0280
	v_accvgpr_write_b32 a190, 0                                // 000000006068: D3D940BE 18000080
	v_mov_b32_e32 v182, 0                                      // 000000006070: 7F6C0280
	v_accvgpr_write_b32 a191, 0                                // 000000006074: D3D940BF 18000080
	v_mov_b32_e32 v183, 0                                      // 00000000607C: 7F6E0280
	v_accvgpr_write_b32 a192, 0                                // 000000006080: D3D940C0 18000080
	v_mov_b32_e32 v184, 0                                      // 000000006088: 7F700280
	v_accvgpr_write_b32 a193, 0                                // 00000000608C: D3D940C1 18000080
	v_mov_b32_e32 v185, 0                                      // 000000006094: 7F720280
	v_accvgpr_write_b32 a194, 0                                // 000000006098: D3D940C2 18000080
	v_mov_b32_e32 v186, 0                                      // 0000000060A0: 7F740280
	v_accvgpr_write_b32 a195, 0                                // 0000000060A4: D3D940C3 18000080
	v_mov_b32_e32 v187, 0                                      // 0000000060AC: 7F760280
	v_accvgpr_write_b32 a196, 0                                // 0000000060B0: D3D940C4 18000080
	v_mov_b32_e32 v188, 0                                      // 0000000060B8: 7F780280
	v_accvgpr_write_b32 a197, 0                                // 0000000060BC: D3D940C5 18000080
	v_mov_b32_e32 v189, 0                                      // 0000000060C4: 7F7A0280
	v_accvgpr_write_b32 a198, 0                                // 0000000060C8: D3D940C6 18000080
	v_mov_b32_e32 v190, 0                                      // 0000000060D0: 7F7C0280
	v_accvgpr_write_b32 a199, 0                                // 0000000060D4: D3D940C7 18000080
	v_mov_b32_e32 v191, 0                                      // 0000000060DC: 7F7E0280
	v_accvgpr_write_b32 a200, 0                                // 0000000060E0: D3D940C8 18000080
	v_mov_b32_e32 v192, 0                                      // 0000000060E8: 7F800280
	v_accvgpr_write_b32 a201, 0                                // 0000000060EC: D3D940C9 18000080
	v_mov_b32_e32 v193, 0                                      // 0000000060F4: 7F820280
	v_accvgpr_write_b32 a202, 0                                // 0000000060F8: D3D940CA 18000080
	v_mov_b32_e32 v194, 0                                      // 000000006100: 7F840280
	v_accvgpr_write_b32 a203, 0                                // 000000006104: D3D940CB 18000080
	v_mov_b32_e32 v195, 0                                      // 00000000610C: 7F860280
	v_accvgpr_write_b32 a204, 0                                // 000000006110: D3D940CC 18000080
	v_mov_b32_e32 v196, 0                                      // 000000006118: 7F880280
	v_accvgpr_write_b32 a205, 0                                // 00000000611C: D3D940CD 18000080
	v_mov_b32_e32 v197, 0                                      // 000000006124: 7F8A0280
	v_accvgpr_write_b32 a206, 0                                // 000000006128: D3D940CE 18000080
	v_mov_b32_e32 v198, 0                                      // 000000006130: 7F8C0280
	v_accvgpr_write_b32 a207, 0                                // 000000006134: D3D940CF 18000080
	v_mov_b32_e32 v199, 0                                      // 00000000613C: 7F8E0280
	v_accvgpr_write_b32 a208, 0                                // 000000006140: D3D940D0 18000080
	v_mov_b32_e32 v200, 0                                      // 000000006148: 7F900280
	v_accvgpr_write_b32 a209, 0                                // 00000000614C: D3D940D1 18000080
	v_mov_b32_e32 v201, 0                                      // 000000006154: 7F920280
	v_accvgpr_write_b32 a210, 0                                // 000000006158: D3D940D2 18000080
	v_mov_b32_e32 v202, 0                                      // 000000006160: 7F940280
	v_accvgpr_write_b32 a211, 0                                // 000000006164: D3D940D3 18000080
	v_mov_b32_e32 v203, 0                                      // 00000000616C: 7F960280
	v_accvgpr_write_b32 a212, 0                                // 000000006170: D3D940D4 18000080
	v_mov_b32_e32 v204, 0                                      // 000000006178: 7F980280
	v_accvgpr_write_b32 a213, 0                                // 00000000617C: D3D940D5 18000080
	v_mov_b32_e32 v205, 0                                      // 000000006184: 7F9A0280
	v_accvgpr_write_b32 a214, 0                                // 000000006188: D3D940D6 18000080
	v_mov_b32_e32 v206, 0                                      // 000000006190: 7F9C0280
	v_accvgpr_write_b32 a215, 0                                // 000000006194: D3D940D7 18000080
	v_mov_b32_e32 v207, 0                                      // 00000000619C: 7F9E0280
	v_accvgpr_write_b32 a216, 0                                // 0000000061A0: D3D940D8 18000080
	v_mov_b32_e32 v208, 0                                      // 0000000061A8: 7FA00280
	v_accvgpr_write_b32 a217, 0                                // 0000000061AC: D3D940D9 18000080
	v_mov_b32_e32 v209, 0                                      // 0000000061B4: 7FA20280
	v_accvgpr_write_b32 a218, 0                                // 0000000061B8: D3D940DA 18000080
	v_mov_b32_e32 v210, 0                                      // 0000000061C0: 7FA40280
	v_accvgpr_write_b32 a219, 0                                // 0000000061C4: D3D940DB 18000080
	v_mov_b32_e32 v211, 0                                      // 0000000061CC: 7FA60280
	v_accvgpr_write_b32 a220, 0                                // 0000000061D0: D3D940DC 18000080
	v_mov_b32_e32 v212, 0                                      // 0000000061D8: 7FA80280
	v_accvgpr_write_b32 a221, 0                                // 0000000061DC: D3D940DD 18000080
	v_mov_b32_e32 v213, 0                                      // 0000000061E4: 7FAA0280
	v_accvgpr_write_b32 a222, 0                                // 0000000061E8: D3D940DE 18000080
	v_mov_b32_e32 v214, 0                                      // 0000000061F0: 7FAC0280
	v_accvgpr_write_b32 a223, 0                                // 0000000061F4: D3D940DF 18000080
	v_mov_b32_e32 v215, 0                                      // 0000000061FC: 7FAE0280
	v_accvgpr_write_b32 a224, 0                                // 000000006200: D3D940E0 18000080
	v_mov_b32_e32 v216, 0                                      // 000000006208: 7FB00280
	v_accvgpr_write_b32 a225, 0                                // 00000000620C: D3D940E1 18000080
	v_mov_b32_e32 v217, 0                                      // 000000006214: 7FB20280
	v_accvgpr_write_b32 a226, 0                                // 000000006218: D3D940E2 18000080
	v_mov_b32_e32 v218, 0                                      // 000000006220: 7FB40280
	v_accvgpr_write_b32 a227, 0                                // 000000006224: D3D940E3 18000080
	v_mov_b32_e32 v219, 0                                      // 00000000622C: 7FB60280
	v_accvgpr_write_b32 a228, 0                                // 000000006230: D3D940E4 18000080
	v_mov_b32_e32 v220, 0                                      // 000000006238: 7FB80280
	v_accvgpr_write_b32 a229, 0                                // 00000000623C: D3D940E5 18000080
	v_mov_b32_e32 v221, 0                                      // 000000006244: 7FBA0280
	v_accvgpr_write_b32 a230, 0                                // 000000006248: D3D940E6 18000080
	v_mov_b32_e32 v222, 0                                      // 000000006250: 7FBC0280
	v_accvgpr_write_b32 a231, 0                                // 000000006254: D3D940E7 18000080
	v_mov_b32_e32 v223, 0                                      // 00000000625C: 7FBE0280
	v_accvgpr_write_b32 a232, 0                                // 000000006260: D3D940E8 18000080
	v_mov_b32_e32 v224, 0                                      // 000000006268: 7FC00280
	v_accvgpr_write_b32 a233, 0                                // 00000000626C: D3D940E9 18000080
	v_mov_b32_e32 v225, 0                                      // 000000006274: 7FC20280
	v_accvgpr_write_b32 a234, 0                                // 000000006278: D3D940EA 18000080
	v_mov_b32_e32 v226, 0                                      // 000000006280: 7FC40280
	v_accvgpr_write_b32 a235, 0                                // 000000006284: D3D940EB 18000080
	v_mov_b32_e32 v227, 0                                      // 00000000628C: 7FC60280
	v_accvgpr_write_b32 a236, 0                                // 000000006290: D3D940EC 18000080
	v_mov_b32_e32 v228, 0                                      // 000000006298: 7FC80280
	v_accvgpr_write_b32 a237, 0                                // 00000000629C: D3D940ED 18000080
	v_mov_b32_e32 v229, 0                                      // 0000000062A4: 7FCA0280
	v_accvgpr_write_b32 a238, 0                                // 0000000062A8: D3D940EE 18000080
	v_mov_b32_e32 v230, 0                                      // 0000000062B0: 7FCC0280
	v_accvgpr_write_b32 a239, 0                                // 0000000062B4: D3D940EF 18000080
	v_mov_b32_e32 v231, 0                                      // 0000000062BC: 7FCE0280
	v_accvgpr_write_b32 a240, 0                                // 0000000062C0: D3D940F0 18000080
	v_mov_b32_e32 v232, 0                                      // 0000000062C8: 7FD00280
	v_accvgpr_write_b32 a241, 0                                // 0000000062CC: D3D940F1 18000080
	v_mov_b32_e32 v233, 0                                      // 0000000062D4: 7FD20280
	v_accvgpr_write_b32 a242, 0                                // 0000000062D8: D3D940F2 18000080
	v_mov_b32_e32 v234, 0                                      // 0000000062E0: 7FD40280
	v_accvgpr_write_b32 a243, 0                                // 0000000062E4: D3D940F3 18000080
	v_mov_b32_e32 v235, 0                                      // 0000000062EC: 7FD60280
	v_accvgpr_write_b32 a244, 0                                // 0000000062F0: D3D940F4 18000080
	v_mov_b32_e32 v236, 0                                      // 0000000062F8: 7FD80280
	v_accvgpr_write_b32 a245, 0                                // 0000000062FC: D3D940F5 18000080
	v_mov_b32_e32 v237, 0                                      // 000000006304: 7FDA0280
	v_accvgpr_write_b32 a246, 0                                // 000000006308: D3D940F6 18000080
	v_mov_b32_e32 v238, 0                                      // 000000006310: 7FDC0280
	v_accvgpr_write_b32 a247, 0                                // 000000006314: D3D940F7 18000080
	v_mov_b32_e32 v239, 0                                      // 00000000631C: 7FDE0280
	v_accvgpr_write_b32 a248, 0                                // 000000006320: D3D940F8 18000080
	v_mov_b32_e32 v240, 0                                      // 000000006328: 7FE00280
	v_accvgpr_write_b32 a249, 0                                // 00000000632C: D3D940F9 18000080
	v_mov_b32_e32 v241, 0                                      // 000000006334: 7FE20280
	v_accvgpr_write_b32 a250, 0                                // 000000006338: D3D940FA 18000080
	v_mov_b32_e32 v242, 0                                      // 000000006340: 7FE40280
	v_accvgpr_write_b32 a251, 0                                // 000000006344: D3D940FB 18000080
	v_mov_b32_e32 v243, 0                                      // 00000000634C: 7FE60280
	v_accvgpr_write_b32 a252, 0                                // 000000006350: D3D940FC 18000080
	v_mov_b32_e32 v244, 0                                      // 000000006358: 7FE80280
	v_accvgpr_write_b32 a253, 0                                // 00000000635C: D3D940FD 18000080
	v_mov_b32_e32 v245, 0                                      // 000000006364: 7FEA0280
	v_accvgpr_write_b32 a254, 0                                // 000000006368: D3D940FE 18000080
	v_mov_b32_e32 v246, 0                                      // 000000006370: 7FEC0280
	v_accvgpr_write_b32 a255, 0                                // 000000006374: D3D940FF 18000080
	v_mov_b32_e32 v247, 0                                      // 00000000637C: 7FEE0280
	v_mov_b32_e32 v136, 0                                      // 000000006380: 7F100280
	v_mov_b32_e32 v137, 0                                      // 000000006384: 7F120280
	v_mov_b32_e32 v138, 0                                      // 000000006388: 7F140280
	v_mov_b32_e32 v139, 0                                      // 00000000638C: 7F160280
	v_mov_b32_e32 v140, 0                                      // 000000006390: 7F180280
	v_mov_b32_e32 v141, 0                                      // 000000006394: 7F1A0280
	v_mov_b32_e32 v142, 0                                      // 000000006398: 7F1C0280
	v_mov_b32_e32 v143, 0                                      // 00000000639C: 7F1E0280
	v_mov_b32_e32 v128, 0                                      // 0000000063A0: 7F000280
	v_mov_b32_e32 v129, 0                                      // 0000000063A4: 7F020280
	v_mov_b32_e32 v130, 0                                      // 0000000063A8: 7F040280
	v_mov_b32_e32 v131, 0                                      // 0000000063AC: 7F060280
	v_mov_b32_e32 v132, 0                                      // 0000000063B0: 7F080280
	v_mov_b32_e32 v133, 0                                      // 0000000063B4: 7F0A0280
	v_mov_b32_e32 v134, 0                                      // 0000000063B8: 7F0C0280
	v_mov_b32_e32 v135, 0                                      // 0000000063BC: 7F0E0280
	s_waitcnt lgkmcnt(0)                                       // 0000000063C0: BF8CC07F
	s_barrier                                                  // 0000000063C4: BF8A0000
	v_mov_b32_e32 v32, 0                                       // 0000000063C8: 7E400280
	s_mov_b64 exec, s[88:89]                                   // 0000000063CC: BEFE0158
	buffer_load_dword v32, v1, s[8:11], 0 idxen                // 0000000063D0: E0502000 80022001
	s_mov_b64 exec, s[86:87]                                   // 0000000063D8: BEFE0156
	v_mov_b32_e32 v33, 0                                       // 0000000063DC: 7E420280
	s_mov_b64 exec, s[88:89]                                   // 0000000063E0: BEFE0158
	buffer_load_dword v33, v2, s[8:11], 0 idxen                // 0000000063E4: E0502000 80022102
	s_mov_b64 exec, s[86:87]                                   // 0000000063EC: BEFE0156
	v_mov_b32_e32 v34, 0                                       // 0000000063F0: 7E440280
	s_mov_b64 exec, s[88:89]                                   // 0000000063F4: BEFE0158
	buffer_load_dword v34, v3, s[8:11], 0 idxen                // 0000000063F8: E0502000 80022203
	s_mov_b64 exec, s[86:87]                                   // 000000006400: BEFE0156
	v_mov_b32_e32 v35, 0                                       // 000000006404: 7E460280
	s_mov_b64 exec, s[88:89]                                   // 000000006408: BEFE0158
	buffer_load_dword v35, v4, s[8:11], 0 idxen                // 00000000640C: E0502000 80022304
	s_mov_b64 exec, s[86:87]                                   // 000000006414: BEFE0156
	v_mov_b32_e32 v40, 0                                       // 000000006418: 7E500280
	s_mov_b64 exec, s[88:89]                                   // 00000000641C: BEFE0158
	buffer_load_dword v40, v252, s[20:23], 0 idxen             // 000000006420: E0502000 800528FC
	s_mov_b64 exec, s[86:87]                                   // 000000006428: BEFE0156
	v_mov_b32_e32 v41, 0                                       // 00000000642C: 7E520280
	s_mov_b64 exec, s[88:89]                                   // 000000006430: BEFE0158
	buffer_load_dword v41, v253, s[20:23], 0 idxen             // 000000006434: E0502000 800529FD
	s_mov_b64 exec, s[86:87]                                   // 00000000643C: BEFE0156
	v_mov_b32_e32 v42, 0                                       // 000000006440: 7E540280
	s_mov_b64 exec, s[88:89]                                   // 000000006444: BEFE0158
	buffer_load_dword v42, v254, s[20:23], 0 idxen             // 000000006448: E0502000 80052AFE
	s_mov_b64 exec, s[86:87]                                   // 000000006450: BEFE0156
	v_mov_b32_e32 v43, 0                                       // 000000006454: 7E560280
	s_mov_b64 exec, s[88:89]                                   // 000000006458: BEFE0158
	buffer_load_dword v43, v255, s[20:23], 0 idxen             // 00000000645C: E0502000 80052BFF
	s_mov_b64 exec, s[86:87]                                   // 000000006464: BEFE0156
	buffer_load_dword v9, s[24:27], 0 idxen lds                // 000000006468: E0512000 80060009
	s_mov_b32 m0, s77                                          // 000000006470: BEFC004D
	v_add_u32_e32 v9, s69, v9                                  // 000000006474: 68121245
	v_add_u32_e32 v1, s68, v1                                  // 000000006478: 68020244
	v_add_u32_e32 v2, s68, v2                                  // 00000000647C: 68040444
	v_add_u32_e32 v3, s68, v3                                  // 000000006480: 68060644
	v_add_u32_e32 v4, s68, v4                                  // 000000006484: 68080844
	v_add_u32_e32 v252, s97, v252                              // 000000006488: 69F9F861
	v_add_u32_e32 v253, s97, v253                              // 00000000648C: 69FBFA61
	v_add_u32_e32 v254, s97, v254                              // 000000006490: 69FDFC61
	v_add_u32_e32 v255, s97, v255                              // 000000006494: 69FFFE61
	v_mul_f32_e32 v124, s48, v124                              // 000000006498: 0AF8F830
	v_perm_b32 v84, v37, v36, s63                              // 00000000649C: D1ED0054 00FE4925
	v_perm_b32 v85, v37, v36, s64                              // 0000000064A4: D1ED0055 01024925
	v_perm_b32 v86, v39, v38, s63                              // 0000000064AC: D1ED0056 00FE4D27
	v_perm_b32 v87, v39, v38, s64                              // 0000000064B4: D1ED0057 01024D27
	v_perm_b32 v88, v45, v44, s63                              // 0000000064BC: D1ED0058 00FE592D
	v_perm_b32 v89, v45, v44, s64                              // 0000000064C4: D1ED0059 0102592D
	v_perm_b32 v90, v47, v46, s63                              // 0000000064CC: D1ED005A 00FE5D2F
	v_perm_b32 v91, v47, v46, s64                              // 0000000064D4: D1ED005B 01025D2F
	v_mov_b32_dpp v127, v124 quad_perm:[3,3,3,3] row_mask:0xf bank_mask:0xf// 0000000064DC: 7EFE02FA FF00FF7C
	v_mov_b32_dpp v126, v124 quad_perm:[2,2,2,2] row_mask:0xf bank_mask:0xf// 0000000064E4: 7EFC02FA FF00AA7C
	v_mov_b32_dpp v125, v124 quad_perm:[1,1,1,1] row_mask:0xf bank_mask:0xf// 0000000064EC: 7EFA02FA FF00557C
	v_mov_b32_dpp v124, v124 quad_perm:[0,0,0,0] row_mask:0xf bank_mask:0xf// 0000000064F4: 7EF802FA FF00007C
	s_waitcnt vmcnt(9)                                         // 0000000064FC: BF8C0F79
	s_barrier                                                  // 000000006500: BF8A0000
	s_cmp_lt_i32 s46, 2                                        // 000000006504: BF04822E
	s_cbranch_scc0 label_10B5                                  // 000000006508: BF8406E8
	s_nop 0                                                    // 00000000650C: BF800000
	s_nop 0                                                    // 000000006510: BF800000

0000000000006514 <label_09C5>:
	s_waitcnt lgkmcnt(0)                                       // 000000006514: BF8CC07F
	s_barrier                                                  // 000000006518: BF8A0000
	v_mfma_f32_16x16x16_bf16 v[48:51], a[144:145], a[0:1], 0   // 00000000651C: D3E10030 1A020190
	ds_write_b32 v11, v44 offset:8704                          // 000000006524: D81A2200 00002C0B
	ds_write_b32 v11, v45 offset:9760                          // 00000000652C: D81A2620 00002D0B
	v_mfma_f32_16x16x16_bf16 v[48:51], a[146:147], a[2:3], v[48:51]// 000000006534: D3E10030 1CC20592
	v_mul_f32_e32 v128, s47, v128                              // 00000000653C: 0B01002F
	v_mul_f32_e32 v129, s47, v129                              // 000000006540: 0B03022F
	v_mfma_f32_16x16x16_bf16 v[48:51], a[148:149], a[4:5], v[48:51]// 000000006544: D3E10030 1CC20994
	ds_write_b32 v11, v46 offset:8832                          // 00000000654C: D81A2280 00002E0B
	ds_write_b32 v11, v47 offset:9888                          // 000000006554: D81A26A0 00002F0B
	v_mfma_f32_16x16x16_bf16 v[48:51], a[150:151], a[6:7], v[48:51]// 00000000655C: D3E10030 1CC20D96
	v_mul_f32_e32 v130, s47, v130                              // 000000006564: 0B05042F
	v_mul_f32_e32 v131, s47, v131                              // 000000006568: 0B07062F
	v_mfma_f32_16x16x16_bf16 v[48:51], a[152:153], a[8:9], v[48:51]// 00000000656C: D3E10030 1CC21198
	ds_write_b64 v20, v[128:129] offset:24320                  // 000000006574: D89A5F00 00008014
	v_mfma_f32_16x16x16_bf16 v[48:51], a[154:155], a[10:11], v[48:51]// 00000000657C: D3E10030 1CC2159A
	v_mul_f32_e32 v132, s47, v132                              // 000000006584: 0B09082F
	v_mul_f32_e32 v133, s47, v133                              // 000000006588: 0B0B0A2F
	v_mfma_f32_16x16x16_bf16 v[48:51], a[156:157], a[12:13], v[48:51]// 00000000658C: D3E10030 1CC2199C
	ds_write_b64 v20, v[130:131] offset:24832                  // 000000006594: D89A6100 00008214
	v_mfma_f32_16x16x16_bf16 v[48:51], a[158:159], a[14:15], v[48:51]// 00000000659C: D3E10030 1CC21D9E
	v_mul_f32_e32 v134, s47, v134                              // 0000000065A4: 0B0D0C2F
	v_mul_f32_e32 v135, s47, v135                              // 0000000065A8: 0B0F0E2F
	v_mfma_f32_16x16x16_bf16 v[52:55], a[144:145], a[16:17], 0 // 0000000065AC: D3E10034 1A022190
	ds_write_b64 v20, v[132:133] offset:25344                  // 0000000065B4: D89A6300 00008414
	v_mfma_f32_16x16x16_bf16 v[52:55], a[146:147], a[18:19], v[52:55]// 0000000065BC: D3E10034 1CD22592
	buffer_atomic_add_f32 v140, v7, s[32:35], 0 offen offset:256// 0000000065C4: E1341100 80088C07
	v_mfma_f32_16x16x16_bf16 v[52:55], a[148:149], a[20:21], v[52:55]// 0000000065CC: D3E10034 1CD22994
	ds_write_b64 v20, v[134:135] offset:25856                  // 0000000065D4: D89A6500 00008614
	v_mfma_f32_16x16x16_bf16 v[52:55], a[150:151], a[22:23], v[52:55]// 0000000065DC: D3E10034 1CD22D96
	v_mfma_f32_16x16x16_bf16 v[52:55], a[152:153], a[24:25], v[52:55]// 0000000065E4: D3E10034 1CD23198
	ds_read_b128 v[108:111], v12 offset:13056                  // 0000000065EC: D9FE3300 6C00000C
	ds_write_b32 v11, v36                                      // 0000000065F4: D81A0000 0000240B
	v_mfma_f32_16x16x16_bf16 v[52:55], a[154:155], a[26:27], v[52:55]// 0000000065FC: D3E10034 1CD2359A
	buffer_atomic_add_f32 v141, v8, s[32:35], 0 offen offset:256// 000000006604: E1341100 80088D08
	v_mfma_f32_16x16x16_bf16 v[52:55], a[156:157], a[28:29], v[52:55]// 00000000660C: D3E10034 1CD2399C
	v_mfma_f32_16x16x16_bf16 v[52:55], a[158:159], a[30:31], v[52:55]// 000000006614: D3E10034 1CD23D9E
	ds_read_b128 v[112:115], v12 offset:13568                  // 00000000661C: D9FE3500 7000000C
	ds_write_b32 v11, v37 offset:1056                          // 000000006624: D81A0420 0000250B
	v_mfma_f32_16x16x16_bf16 v[56:59], a[144:145], a[32:33], 0 // 00000000662C: D3E10038 1A024190
	buffer_atomic_add_f32 v142, v7, s[32:35], 0 offen offset:384// 000000006634: E1341180 80088E07
	v_mfma_f32_16x16x16_bf16 v[56:59], a[146:147], a[34:35], v[56:59]// 00000000663C: D3E10038 1CE24592
	v_mfma_f32_16x16x16_bf16 v[56:59], a[148:149], a[36:37], v[56:59]// 000000006644: D3E10038 1CE24994
	ds_read_b128 v[116:119], v12 offset:15232                  // 00000000664C: D9FE3B80 7400000C
	ds_write_b32 v11, v38 offset:128                           // 000000006654: D81A0080 0000260B
	v_mfma_f32_16x16x16_bf16 v[56:59], a[150:151], a[38:39], v[56:59]// 00000000665C: D3E10038 1CE24D96
	v_mfma_f32_16x16x16_bf16 v[56:59], a[152:153], a[40:41], v[56:59]// 000000006664: D3E10038 1CE25198
	buffer_atomic_add_f32 v143, v8, s[32:35], 0 offen offset:384// 00000000666C: E1341180 80088F08
	v_mfma_f32_16x16x16_bf16 v[56:59], a[154:155], a[42:43], v[56:59]// 000000006674: D3E10038 1CE2559A
	ds_read_b128 v[120:123], v12 offset:15744                  // 00000000667C: D9FE3D80 7800000C
	ds_write_b32 v11, v39 offset:1184                          // 000000006684: D81A04A0 0000270B
	v_mfma_f32_16x16x16_bf16 v[56:59], a[156:157], a[44:45], v[56:59]// 00000000668C: D3E10038 1CE2599C
	v_mfma_f32_16x16x16_bf16 v[56:59], a[158:159], a[46:47], v[56:59]// 000000006694: D3E10038 1CE25D9E
	s_cmp_lt_i32 s99, 0xc0                                     // 00000000669C: BF04FF63 000000C0
	s_cbranch_scc0 label_0A7C                                  // 0000000066A4: BF84004D
	s_cmp_le_i32 s99, 64                                       // 0000000066A8: BF05C063
	s_cbranch_scc1 label_0A33                                  // 0000000066AC: BF850007
	s_cmp_le_i32 s99, 0x80                                     // 0000000066B0: BF05FF63 00000080
	s_cbranch_scc1 label_0A4B                                  // 0000000066B8: BF850017
	s_cmp_lt_i32 s99, 0xc0                                     // 0000000066BC: BF04FF63 000000C0
	s_cbranch_scc1 label_0A63                                  // 0000000066C4: BF85002C
	s_branch label_0A7C                                        // 0000000066C8: BF820044

00000000000066cc <label_0A33>:
	s_mov_b32 s60, 0                                           // 0000000066CC: BEBC0080
	v_and_b32_e32 v28, 15, v0                                  // 0000000066D0: 2638008F
	v_add_u32_e64 v28, v28, s60                                // 0000000066D4: D134001C 0000791C
	v_mul_i32_i24_e64 v29, s46, 16                             // 0000000066DC: D106001D 0001202E
	v_add_u32_e32 v28, v28, v29                                // 0000000066E4: 68383B1C
	v_cmp_lt_u32_e64 s[60:61], v28, s99                        // 0000000066E8: D0C9003C 0000C71C
	s_nop 1                                                    // 0000000066F0: BF800001
	v_cndmask_b32_e64 v48, v151, v48, s[60:61]                 // 0000000066F4: D1000030 00F26197
	v_cndmask_b32_e64 v49, v151, v49, s[60:61]                 // 0000000066FC: D1000031 00F26397
	v_cndmask_b32_e64 v50, v151, v50, s[60:61]                 // 000000006704: D1000032 00F26597
	v_cndmask_b32_e64 v51, v151, v51, s[60:61]                 // 00000000670C: D1000033 00F26797
	s_branch label_0A5E                                        // 000000006714: BF820013

0000000000006718 <label_0A4B>:
	s_mov_b32 s60, 64                                          // 000000006718: BEBC00C0
	v_and_b32_e32 v28, 15, v0                                  // 00000000671C: 2638008F
	v_add_u32_e64 v28, v28, s60                                // 000000006720: D134001C 0000791C
	v_mul_i32_i24_e64 v29, s46, 16                             // 000000006728: D106001D 0001202E
	v_add_u32_e32 v28, v28, v29                                // 000000006730: 68383B1C
	v_cmp_lt_u32_e64 s[60:61], v28, s99                        // 000000006734: D0C9003C 0000C71C
	s_nop 1                                                    // 00000000673C: BF800001
	v_cndmask_b32_e64 v52, v151, v52, s[60:61]                 // 000000006740: D1000034 00F26997
	v_cndmask_b32_e64 v53, v151, v53, s[60:61]                 // 000000006748: D1000035 00F26B97
	v_cndmask_b32_e64 v54, v151, v54, s[60:61]                 // 000000006750: D1000036 00F26D97
	v_cndmask_b32_e64 v55, v151, v55, s[60:61]                 // 000000006758: D1000037 00F26F97
	s_branch label_0A77                                        // 000000006760: BF820019

0000000000006764 <label_0A5E>:
	v_mov_b32_e32 v52, v151                                    // 000000006764: 7E680397
	v_mov_b32_e32 v53, v151                                    // 000000006768: 7E6A0397
	v_mov_b32_e32 v54, v151                                    // 00000000676C: 7E6C0397
	v_mov_b32_e32 v55, v151                                    // 000000006770: 7E6E0397
	s_branch label_0A77                                        // 000000006774: BF820014

0000000000006778 <label_0A63>:
	s_mov_b32 s60, 0x80                                        // 000000006778: BEBC00FF 00000080
	v_and_b32_e32 v28, 15, v0                                  // 000000006780: 2638008F
	v_add_u32_e64 v28, v28, s60                                // 000000006784: D134001C 0000791C
	v_mul_i32_i24_e64 v29, s46, 16                             // 00000000678C: D106001D 0001202E
	v_add_u32_e32 v28, v28, v29                                // 000000006794: 68383B1C
	v_cmp_lt_u32_e64 s[60:61], v28, s99                        // 000000006798: D0C9003C 0000C71C
	s_nop 1                                                    // 0000000067A0: BF800001
	v_cndmask_b32_e64 v56, v151, v56, s[60:61]                 // 0000000067A4: D1000038 00F27197
	v_cndmask_b32_e64 v57, v151, v57, s[60:61]                 // 0000000067AC: D1000039 00F27397
	v_cndmask_b32_e64 v58, v151, v58, s[60:61]                 // 0000000067B4: D100003A 00F27597
	v_cndmask_b32_e64 v59, v151, v59, s[60:61]                 // 0000000067BC: D100003B 00F27797
	s_branch label_0A7C                                        // 0000000067C4: BF820005

00000000000067c8 <label_0A77>:
	v_mov_b32_e32 v56, v151                                    // 0000000067C8: 7E700397
	v_mov_b32_e32 v57, v151                                    // 0000000067CC: 7E720397
	v_mov_b32_e32 v58, v151                                    // 0000000067D0: 7E740397
	v_mov_b32_e32 v59, v151                                    // 0000000067D4: 7E760397
	s_branch label_0A7C                                        // 0000000067D8: BF820000

00000000000067dc <label_0A7C>:
	s_waitcnt lgkmcnt(8)                                       // 0000000067DC: BF8CC87F
	s_barrier                                                  // 0000000067E0: BF8A0000
	v_mfma_f32_16x16x16_bf16 v[72:75], v[92:93], a[96:97], 0   // 0000000067E4: D3E10048 1202C15C
	ds_read_b128 a[144:147], v12 offset:4352                   // 0000000067EC: DBFE1100 9000000C
	ds_read_b128 a[148:151], v12 offset:4864                   // 0000000067F4: DBFE1300 9400000C
	v_mfma_f32_16x16x16_bf16 v[72:75], v[94:95], a[98:99], v[72:75]// 0000000067FC: D3E10048 1522C55E
	v_fma_f32 v48, v48, s57, -v124                             // 000000006804: D1CB0030 85F07330
	v_fma_f32 v49, v49, s57, -v125                             // 00000000680C: D1CB0031 85F47331
	v_fma_f32 v50, v50, s57, -v126                             // 000000006814: D1CB0032 85F87332
	v_mfma_f32_16x16x16_bf16 v[72:75], v[96:97], a[100:101], v[72:75]// 00000000681C: D3E10048 1522C960
	v_fma_f32 v51, v51, s57, -v127                             // 000000006824: D1CB0033 85FC7333
	v_fma_f32 v52, v52, s57, -v124                             // 00000000682C: D1CB0034 85F07334
	v_fma_f32 v53, v53, s57, -v125                             // 000000006834: D1CB0035 85F47335
	v_mfma_f32_16x16x16_bf16 v[72:75], v[98:99], a[102:103], v[72:75]// 00000000683C: D3E10048 1522CD62
	v_fma_f32 v54, v54, s57, -v126                             // 000000006844: D1CB0036 85F87336
	v_fma_f32 v55, v55, s57, -v127                             // 00000000684C: D1CB0037 85FC7337
	v_fma_f32 v56, v56, s57, -v124                             // 000000006854: D1CB0038 85F07338
	v_mfma_f32_16x16x16_bf16 v[72:75], v[100:101], a[104:105], v[72:75]// 00000000685C: D3E10048 1522D164
	ds_read_b128 a[152:155], v12 offset:6528                   // 000000006864: DBFE1980 9800000C
	ds_read_b128 a[156:159], v12 offset:7040                   // 00000000686C: DBFE1B80 9C00000C
	v_mfma_f32_16x16x16_bf16 v[72:75], v[102:103], a[106:107], v[72:75]// 000000006874: D3E10048 1522D566
	v_fma_f32 v57, v57, s57, -v125                             // 00000000687C: D1CB0039 85F47339
	v_fma_f32 v58, v58, s57, -v126                             // 000000006884: D1CB003A 85F8733A
	v_fma_f32 v59, v59, s57, -v127                             // 00000000688C: D1CB003B 85FC733B
	v_mfma_f32_16x16x16_bf16 v[72:75], v[104:105], a[108:109], v[72:75]// 000000006894: D3E10048 1522D968
	v_exp_f32_e32 v48, v48                                     // 00000000689C: 7E604130
	v_mfma_f32_16x16x16_bf16 v[72:75], v[106:107], a[110:111], v[72:75]// 0000000068A0: D3E10048 1522DD6A
	v_exp_f32_e32 v49, v49                                     // 0000000068A8: 7E624131
	v_mfma_f32_16x16x16_bf16 v[76:79], v[92:93], a[112:113], 0 // 0000000068AC: D3E1004C 1202E15C
	ds_read_b64 v[136:137], v19 offset:24320                   // 0000000068B4: D8EC5F00 88000013
	ds_read_b64 v[138:139], v19 offset:26368                   // 0000000068BC: D8EC6700 8A000013
	v_mfma_f32_16x16x16_bf16 v[76:79], v[94:95], a[114:115], v[76:79]// 0000000068C4: D3E1004C 1532E55E
	v_exp_f32_e32 v50, v50                                     // 0000000068CC: 7E644132
	v_mfma_f32_16x16x16_bf16 v[76:79], v[96:97], a[116:117], v[76:79]// 0000000068D0: D3E1004C 1532E960
	ds_read_b64 v[140:141], v19 offset:28416                   // 0000000068D8: D8EC6F00 8C000013
	ds_read_b64 v[142:143], v19 offset:30464                   // 0000000068E0: D8EC7700 8E000013
	v_mfma_f32_16x16x16_bf16 v[76:79], v[98:99], a[118:119], v[76:79]// 0000000068E8: D3E1004C 1532ED62
	v_exp_f32_e32 v51, v51                                     // 0000000068F0: 7E664133
	v_mfma_f32_16x16x16_bf16 v[76:79], v[100:101], a[120:121], v[76:79]// 0000000068F4: D3E1004C 1532F164
	v_exp_f32_e32 v52, v52                                     // 0000000068FC: 7E684134
	v_mfma_f32_16x16x16_bf16 v[76:79], v[102:103], a[122:123], v[76:79]// 000000006900: D3E1004C 1532F566
	v_exp_f32_e32 v53, v53                                     // 000000006908: 7E6A4135
	v_mfma_f32_16x16x16_bf16 v[76:79], v[104:105], a[124:125], v[76:79]// 00000000690C: D3E1004C 1532F968
	v_exp_f32_e32 v54, v54                                     // 000000006914: 7E6C4136
	v_mfma_f32_16x16x16_bf16 v[76:79], v[106:107], a[126:127], v[76:79]// 000000006918: D3E1004C 1532FD6A
	v_exp_f32_e32 v55, v55                                     // 000000006920: 7E6E4137
	v_mfma_f32_16x16x16_bf16 v[80:83], v[92:93], a[128:129], 0 // 000000006924: D3E10050 1203015C
	v_exp_f32_e32 v56, v56                                     // 00000000692C: 7E704138
	v_mfma_f32_16x16x16_bf16 v[80:83], v[94:95], a[130:131], v[80:83]// 000000006930: D3E10050 1543055E
	v_exp_f32_e32 v57, v57                                     // 000000006938: 7E724139
	v_mfma_f32_16x16x16_bf16 v[80:83], v[96:97], a[132:133], v[80:83]// 00000000693C: D3E10050 15430960
	v_exp_f32_e32 v58, v58                                     // 000000006944: 7E74413A
	v_mfma_f32_16x16x16_bf16 v[80:83], v[98:99], a[134:135], v[80:83]// 000000006948: D3E10050 15430D62
	v_exp_f32_e32 v59, v59                                     // 000000006950: 7E76413B
	v_mfma_f32_16x16x16_bf16 v[80:83], v[100:101], a[136:137], v[80:83]// 000000006954: D3E10050 15431164
	v_cmp_u_f32_e64 s[74:75], v48, v48                         // 00000000695C: D048004A 00026130
	v_bfe_u32 v248, v48, 16, 1                                 // 000000006964: D1C800F8 02052130
	v_add3_u32 v248, v48, v248, v251                           // 00000000696C: D1FF00F8 07EFF130
	v_cndmask_b32_e64 v28, v248, v250, s[74:75]                // 000000006974: D100001C 012BF5F8
	v_lshrrev_b32_e32 v28, 16, v28                             // 00000000697C: 20383890
	v_cmp_u_f32_e64 s[74:75], v49, v49                         // 000000006980: D048004A 00026331
	v_bfe_u32 v248, v49, 16, 1                                 // 000000006988: D1C800F8 02052131
	v_add3_u32 v248, v49, v248, v251                           // 000000006990: D1FF00F8 07EFF131
	v_cndmask_b32_e64 v29, v248, v250, s[74:75]                // 000000006998: D100001D 012BF5F8
	v_and_or_b32 v144, v29, v249, v28                          // 0000000069A0: D2010090 0473F31D
	v_cmp_u_f32_e64 s[74:75], v50, v50                         // 0000000069A8: D048004A 00026532
	v_bfe_u32 v248, v50, 16, 1                                 // 0000000069B0: D1C800F8 02052132
	v_add3_u32 v248, v50, v248, v251                           // 0000000069B8: D1FF00F8 07EFF132
	v_cndmask_b32_e64 v28, v248, v250, s[74:75]                // 0000000069C0: D100001C 012BF5F8
	v_lshrrev_b32_e32 v28, 16, v28                             // 0000000069C8: 20383890
	v_cmp_u_f32_e64 s[74:75], v51, v51                         // 0000000069CC: D048004A 00026733
	v_bfe_u32 v248, v51, 16, 1                                 // 0000000069D4: D1C800F8 02052133
	v_add3_u32 v248, v51, v248, v251                           // 0000000069DC: D1FF00F8 07EFF133
	v_cndmask_b32_e64 v29, v248, v250, s[74:75]                // 0000000069E4: D100001D 012BF5F8
	v_and_or_b32 v145, v29, v249, v28                          // 0000000069EC: D2010091 0473F31D
	v_cmp_u_f32_e64 s[74:75], v52, v52                         // 0000000069F4: D048004A 00026934
	v_bfe_u32 v248, v52, 16, 1                                 // 0000000069FC: D1C800F8 02052134
	v_add3_u32 v248, v52, v248, v251                           // 000000006A04: D1FF00F8 07EFF134
	v_cndmask_b32_e64 v28, v248, v250, s[74:75]                // 000000006A0C: D100001C 012BF5F8
	v_lshrrev_b32_e32 v28, 16, v28                             // 000000006A14: 20383890
	v_cmp_u_f32_e64 s[74:75], v53, v53                         // 000000006A18: D048004A 00026B35
	v_bfe_u32 v248, v53, 16, 1                                 // 000000006A20: D1C800F8 02052135
	v_add3_u32 v248, v53, v248, v251                           // 000000006A28: D1FF00F8 07EFF135
	v_cndmask_b32_e64 v29, v248, v250, s[74:75]                // 000000006A30: D100001D 012BF5F8
	v_and_or_b32 v146, v29, v249, v28                          // 000000006A38: D2010092 0473F31D
	v_mfma_f32_16x16x16_bf16 v[80:83], v[102:103], a[138:139], v[80:83]// 000000006A40: D3E10050 15431566
	v_cmp_u_f32_e64 s[74:75], v54, v54                         // 000000006A48: D048004A 00026D36
	v_bfe_u32 v248, v54, 16, 1                                 // 000000006A50: D1C800F8 02052136
	v_add3_u32 v248, v54, v248, v251                           // 000000006A58: D1FF00F8 07EFF136
	v_cndmask_b32_e64 v28, v248, v250, s[74:75]                // 000000006A60: D100001C 012BF5F8
	v_lshrrev_b32_e32 v28, 16, v28                             // 000000006A68: 20383890
	v_cmp_u_f32_e64 s[74:75], v55, v55                         // 000000006A6C: D048004A 00026F37
	v_bfe_u32 v248, v55, 16, 1                                 // 000000006A74: D1C800F8 02052137
	v_add3_u32 v248, v55, v248, v251                           // 000000006A7C: D1FF00F8 07EFF137
	v_cndmask_b32_e64 v29, v248, v250, s[74:75]                // 000000006A84: D100001D 012BF5F8
	v_and_or_b32 v147, v29, v249, v28                          // 000000006A8C: D2010093 0473F31D
	v_cmp_u_f32_e64 s[74:75], v56, v56                         // 000000006A94: D048004A 00027138
	v_bfe_u32 v248, v56, 16, 1                                 // 000000006A9C: D1C800F8 02052138
	v_add3_u32 v248, v56, v248, v251                           // 000000006AA4: D1FF00F8 07EFF138
	v_cndmask_b32_e64 v28, v248, v250, s[74:75]                // 000000006AAC: D100001C 012BF5F8
	v_lshrrev_b32_e32 v28, 16, v28                             // 000000006AB4: 20383890
	v_cmp_u_f32_e64 s[74:75], v57, v57                         // 000000006AB8: D048004A 00027339
	v_bfe_u32 v248, v57, 16, 1                                 // 000000006AC0: D1C800F8 02052139
	v_add3_u32 v248, v57, v248, v251                           // 000000006AC8: D1FF00F8 07EFF139
	v_cndmask_b32_e64 v29, v248, v250, s[74:75]                // 000000006AD0: D100001D 012BF5F8
	v_and_or_b32 v148, v29, v249, v28                          // 000000006AD8: D2010094 0473F31D
	v_cmp_u_f32_e64 s[74:75], v58, v58                         // 000000006AE0: D048004A 0002753A
	v_bfe_u32 v248, v58, 16, 1                                 // 000000006AE8: D1C800F8 0205213A
	v_add3_u32 v248, v58, v248, v251                           // 000000006AF0: D1FF00F8 07EFF13A
	v_cndmask_b32_e64 v28, v248, v250, s[74:75]                // 000000006AF8: D100001C 012BF5F8
	v_lshrrev_b32_e32 v28, 16, v28                             // 000000006B00: 20383890
	v_cmp_u_f32_e64 s[74:75], v59, v59                         // 000000006B04: D048004A 0002773B
	v_bfe_u32 v248, v59, 16, 1                                 // 000000006B0C: D1C800F8 0205213B
	v_add3_u32 v248, v59, v248, v251                           // 000000006B14: D1FF00F8 07EFF13B
	v_cndmask_b32_e64 v29, v248, v250, s[74:75]                // 000000006B1C: D100001D 012BF5F8
	v_and_or_b32 v149, v29, v249, v28                          // 000000006B24: D2010095 0473F31D
	v_mfma_f32_16x16x16_bf16 v[80:83], v[104:105], a[140:141], v[80:83]// 000000006B2C: D3E10050 15431968
	v_add_u32_e32 v7, s66, v7                                  // 000000006B34: 680E0E42
	v_add_u32_e32 v8, s66, v8                                  // 000000006B38: 68101042
	v_mfma_f32_16x16x16_bf16 v[80:83], v[106:107], a[142:143], v[80:83]// 000000006B3C: D3E10050 15431D6A
	s_waitcnt lgkmcnt(0)                                       // 000000006B44: BF8CC07F
	s_barrier                                                  // 000000006B48: BF8A0000
	v_mfma_f32_16x16x16_bf16 v[152:155], v[108:109], v[144:145], v[152:155]// 000000006B4C: D3E10098 0663216C
	v_subrev_f32_dpp v72, v150, v72 quad_perm:[0,0,0,0] row_mask:0xf bank_mask:0xf// 000000006B54: 069090FA FF000096
	v_subrev_f32_dpp v73, v150, v73 quad_perm:[1,1,1,1] row_mask:0xf bank_mask:0xf// 000000006B5C: 069292FA FF005596
	v_subrev_f32_dpp v74, v150, v74 quad_perm:[2,2,2,2] row_mask:0xf bank_mask:0xf// 000000006B64: 069494FA FF00AA96
	v_mfma_f32_16x16x16_bf16 v[156:159], v[110:111], v[144:145], v[156:159]// 000000006B6C: D3E1009C 0673216E
	v_subrev_f32_dpp v75, v150, v75 quad_perm:[3,3,3,3] row_mask:0xf bank_mask:0xf// 000000006B74: 069696FA FF00FF96
	v_subrev_f32_dpp v76, v150, v76 quad_perm:[0,0,0,0] row_mask:0xf bank_mask:0xf// 000000006B7C: 069898FA FF000096
	v_subrev_f32_dpp v77, v150, v77 quad_perm:[1,1,1,1] row_mask:0xf bank_mask:0xf// 000000006B84: 069A9AFA FF005596
	v_mfma_f32_16x16x16_bf16 v[160:163], v[112:113], v[144:145], v[160:163]// 000000006B8C: D3E100A0 06832170
	v_mul_f32_e32 v72, v48, v72                                // 000000006B94: 0A909130
	v_mul_f32_e32 v73, v49, v73                                // 000000006B98: 0A929331
	v_mul_f32_e32 v74, v50, v74                                // 000000006B9C: 0A949532
	v_mfma_f32_16x16x16_bf16 v[164:167], v[114:115], v[144:145], v[164:167]// 000000006BA0: D3E100A4 06932172
	v_mul_f32_e32 v75, v51, v75                                // 000000006BA8: 0A969733
	v_mul_f32_e32 v76, v52, v76                                // 000000006BAC: 0A989934
	v_mul_f32_e32 v77, v53, v77                                // 000000006BB0: 0A9A9B35
	v_mfma_f32_16x16x16_bf16 v[168:171], v[116:117], v[144:145], v[168:171]// 000000006BB4: D3E100A8 06A32174
	v_cmp_u_f32_e64 s[74:75], v72, v72                         // 000000006BBC: D048004A 00029148
	v_bfe_u32 v248, v72, 16, 1                                 // 000000006BC4: D1C800F8 02052148
	v_add3_u32 v248, v72, v248, v251                           // 000000006BCC: D1FF00F8 07EFF148
	v_cndmask_b32_e64 v28, v248, v250, s[74:75]                // 000000006BD4: D100001C 012BF5F8
	v_lshrrev_b32_e32 v28, 16, v28                             // 000000006BDC: 20383890
	v_cmp_u_f32_e64 s[74:75], v73, v73                         // 000000006BE0: D048004A 00029349
	v_bfe_u32 v248, v73, 16, 1                                 // 000000006BE8: D1C800F8 02052149
	v_add3_u32 v248, v73, v248, v251                           // 000000006BF0: D1FF00F8 07EFF149
	v_cndmask_b32_e64 v29, v248, v250, s[74:75]                // 000000006BF8: D100001D 012BF5F8
	v_and_or_b32 v72, v29, v249, v28                           // 000000006C00: D2010048 0473F31D
	v_cmp_u_f32_e64 s[74:75], v74, v74                         // 000000006C08: D048004A 0002954A
	v_bfe_u32 v248, v74, 16, 1                                 // 000000006C10: D1C800F8 0205214A
	v_add3_u32 v248, v74, v248, v251                           // 000000006C18: D1FF00F8 07EFF14A
	v_cndmask_b32_e64 v28, v248, v250, s[74:75]                // 000000006C20: D100001C 012BF5F8
	v_lshrrev_b32_e32 v28, 16, v28                             // 000000006C28: 20383890
	v_cmp_u_f32_e64 s[74:75], v75, v75                         // 000000006C2C: D048004A 0002974B
	v_bfe_u32 v248, v75, 16, 1                                 // 000000006C34: D1C800F8 0205214B
	v_add3_u32 v248, v75, v248, v251                           // 000000006C3C: D1FF00F8 07EFF14B
	v_cndmask_b32_e64 v29, v248, v250, s[74:75]                // 000000006C44: D100001D 012BF5F8
	v_and_or_b32 v73, v29, v249, v28                           // 000000006C4C: D2010049 0473F31D
	v_cmp_u_f32_e64 s[74:75], v76, v76                         // 000000006C54: D048004A 0002994C
	v_bfe_u32 v248, v76, 16, 1                                 // 000000006C5C: D1C800F8 0205214C
	v_add3_u32 v248, v76, v248, v251                           // 000000006C64: D1FF00F8 07EFF14C
	v_cndmask_b32_e64 v28, v248, v250, s[74:75]                // 000000006C6C: D100001C 012BF5F8
	v_lshrrev_b32_e32 v28, 16, v28                             // 000000006C74: 20383890
	v_cmp_u_f32_e64 s[74:75], v77, v77                         // 000000006C78: D048004A 00029B4D
	v_bfe_u32 v248, v77, 16, 1                                 // 000000006C80: D1C800F8 0205214D
	v_add3_u32 v248, v77, v248, v251                           // 000000006C88: D1FF00F8 07EFF14D
	v_cndmask_b32_e64 v29, v248, v250, s[74:75]                // 000000006C90: D100001D 012BF5F8
	v_and_or_b32 v74, v29, v249, v28                           // 000000006C98: D201004A 0473F31D
	v_mfma_f32_16x16x16_bf16 v[172:175], v[118:119], v[144:145], v[172:175]// 000000006CA0: D3E100AC 06B32176
	v_mov_b32_dpp v16, v72 quad_perm:[1,0,3,2] row_mask:0xf bank_mask:0xf// 000000006CA8: 7E2002FA FF00B148
	v_perm_b32 v48, v16, v72, v15                              // 000000006CB0: D1ED0030 043E9110
	v_mov_b32_dpp v16, v73 quad_perm:[1,0,3,2] row_mask:0xf bank_mask:0xf// 000000006CB8: 7E2002FA FF00B149
	v_mfma_f32_16x16x16_bf16 v[176:179], v[120:121], v[144:145], v[176:179]// 000000006CC0: D3E100B0 06C32178
	v_perm_b32 v49, v16, v73, v15                              // 000000006CC8: D1ED0031 043E9310
	v_mov_b32_dpp v16, v74 quad_perm:[1,0,3,2] row_mask:0xf bank_mask:0xf// 000000006CD0: 7E2002FA FF00B14A
	v_perm_b32 v50, v16, v74, v15                              // 000000006CD8: D1ED0032 043E9510
	v_mfma_f32_16x16x16_bf16 v[180:183], v[122:123], v[144:145], v[180:183]// 000000006CE0: D3E100B4 06D3217A
	ds_write_b32 v18, v48 offset:17408                         // 000000006CE8: D81A4400 00003012
	v_mfma_f32_16x16x16_bf16 v[184:187], v[108:109], v[146:147], v[184:187]// 000000006CF0: D3E100B8 06E3256C
	v_subrev_f32_dpp v78, v150, v78 quad_perm:[2,2,2,2] row_mask:0xf bank_mask:0xf// 000000006CF8: 069C9CFA FF00AA96
	v_subrev_f32_dpp v79, v150, v79 quad_perm:[3,3,3,3] row_mask:0xf bank_mask:0xf// 000000006D00: 069E9EFA FF00FF96
	v_subrev_f32_dpp v80, v150, v80 quad_perm:[0,0,0,0] row_mask:0xf bank_mask:0xf// 000000006D08: 06A0A0FA FF000096
	v_mfma_f32_16x16x16_bf16 v[188:191], v[110:111], v[146:147], v[188:191]// 000000006D10: D3E100BC 06F3256E
	ds_write_b32 v18, v49 offset:17952                         // 000000006D18: D81A4620 00003112
	v_mfma_f32_16x16x16_bf16 v[192:195], v[112:113], v[146:147], v[192:195]// 000000006D20: D3E100C0 07032570
	v_subrev_f32_dpp v81, v150, v81 quad_perm:[1,1,1,1] row_mask:0xf bank_mask:0xf// 000000006D28: 06A2A2FA FF005596
	v_subrev_f32_dpp v82, v150, v82 quad_perm:[2,2,2,2] row_mask:0xf bank_mask:0xf// 000000006D30: 06A4A4FA FF00AA96
	v_subrev_f32_dpp v83, v150, v83 quad_perm:[3,3,3,3] row_mask:0xf bank_mask:0xf// 000000006D38: 06A6A6FA FF00FF96
	v_mfma_f32_16x16x16_bf16 v[196:199], v[114:115], v[146:147], v[196:199]// 000000006D40: D3E100C4 07132572
	ds_write_b32 v18, v50 offset:19712                         // 000000006D48: D81A4D00 00003212
	v_mfma_f32_16x16x16_bf16 v[200:203], v[116:117], v[146:147], v[200:203]// 000000006D50: D3E100C8 07232574
	v_mul_f32_e32 v78, v54, v78                                // 000000006D58: 0A9C9D36
	v_mul_f32_e32 v79, v55, v79                                // 000000006D5C: 0A9E9F37
	v_mul_f32_e32 v80, v56, v80                                // 000000006D60: 0AA0A138
	v_mfma_f32_16x16x16_bf16 v[204:207], v[118:119], v[146:147], v[204:207]// 000000006D64: D3E100CC 07332576
	v_mul_f32_e32 v81, v57, v81                                // 000000006D6C: 0AA2A339
	v_mul_f32_e32 v82, v58, v82                                // 000000006D70: 0AA4A53A
	v_mul_f32_e32 v83, v59, v83                                // 000000006D74: 0AA6A73B
	v_mfma_f32_16x16x16_bf16 v[208:211], v[120:121], v[146:147], v[208:211]// 000000006D78: D3E100D0 07432578
	v_cmp_u_f32_e64 s[74:75], v78, v78                         // 000000006D80: D048004A 00029D4E
	v_bfe_u32 v248, v78, 16, 1                                 // 000000006D88: D1C800F8 0205214E
	v_add3_u32 v248, v78, v248, v251                           // 000000006D90: D1FF00F8 07EFF14E
	v_cndmask_b32_e64 v28, v248, v250, s[74:75]                // 000000006D98: D100001C 012BF5F8
	v_lshrrev_b32_e32 v28, 16, v28                             // 000000006DA0: 20383890
	v_cmp_u_f32_e64 s[74:75], v79, v79                         // 000000006DA4: D048004A 00029F4F
	v_bfe_u32 v248, v79, 16, 1                                 // 000000006DAC: D1C800F8 0205214F
	v_add3_u32 v248, v79, v248, v251                           // 000000006DB4: D1FF00F8 07EFF14F
	v_cndmask_b32_e64 v29, v248, v250, s[74:75]                // 000000006DBC: D100001D 012BF5F8
	v_and_or_b32 v75, v29, v249, v28                           // 000000006DC4: D201004B 0473F31D
	v_cmp_u_f32_e64 s[74:75], v80, v80                         // 000000006DCC: D048004A 0002A150
	v_bfe_u32 v248, v80, 16, 1                                 // 000000006DD4: D1C800F8 02052150
	v_add3_u32 v248, v80, v248, v251                           // 000000006DDC: D1FF00F8 07EFF150
	v_cndmask_b32_e64 v28, v248, v250, s[74:75]                // 000000006DE4: D100001C 012BF5F8
	v_lshrrev_b32_e32 v28, 16, v28                             // 000000006DEC: 20383890
	v_cmp_u_f32_e64 s[74:75], v81, v81                         // 000000006DF0: D048004A 0002A351
	v_bfe_u32 v248, v81, 16, 1                                 // 000000006DF8: D1C800F8 02052151
	v_add3_u32 v248, v81, v248, v251                           // 000000006E00: D1FF00F8 07EFF151
	v_cndmask_b32_e64 v29, v248, v250, s[74:75]                // 000000006E08: D100001D 012BF5F8
	v_and_or_b32 v76, v29, v249, v28                           // 000000006E10: D201004C 0473F31D
	v_cmp_u_f32_e64 s[74:75], v82, v82                         // 000000006E18: D048004A 0002A552
	v_bfe_u32 v248, v82, 16, 1                                 // 000000006E20: D1C800F8 02052152
	v_add3_u32 v248, v82, v248, v251                           // 000000006E28: D1FF00F8 07EFF152
	v_cndmask_b32_e64 v28, v248, v250, s[74:75]                // 000000006E30: D100001C 012BF5F8
	v_lshrrev_b32_e32 v28, 16, v28                             // 000000006E38: 20383890
	v_cmp_u_f32_e64 s[74:75], v83, v83                         // 000000006E3C: D048004A 0002A753
	v_bfe_u32 v248, v83, 16, 1                                 // 000000006E44: D1C800F8 02052153
	v_add3_u32 v248, v83, v248, v251                           // 000000006E4C: D1FF00F8 07EFF153
	v_cndmask_b32_e64 v29, v248, v250, s[74:75]                // 000000006E54: D100001D 012BF5F8
	v_and_or_b32 v77, v29, v249, v28                           // 000000006E5C: D201004D 0473F31D
	v_mfma_f32_16x16x16_bf16 v[212:215], v[122:123], v[146:147], v[212:215]// 000000006E64: D3E100D4 0753257A
	v_mov_b32_dpp v16, v75 quad_perm:[1,0,3,2] row_mask:0xf bank_mask:0xf// 000000006E6C: 7E2002FA FF00B14B
	v_perm_b32 v51, v16, v75, v15                              // 000000006E74: D1ED0033 043E9710
	v_mov_b32_dpp v16, v76 quad_perm:[1,0,3,2] row_mask:0xf bank_mask:0xf// 000000006E7C: 7E2002FA FF00B14C
	v_mfma_f32_16x16x16_bf16 v[216:219], v[108:109], v[148:149], v[216:219]// 000000006E84: D3E100D8 0763296C
	v_perm_b32 v52, v16, v76, v15                              // 000000006E8C: D1ED0034 043E9910
	v_mov_b32_dpp v16, v77 quad_perm:[1,0,3,2] row_mask:0xf bank_mask:0xf// 000000006E94: 7E2002FA FF00B14D
	v_perm_b32 v53, v16, v77, v15                              // 000000006E9C: D1ED0035 043E9B10
	v_mfma_f32_16x16x16_bf16 v[220:223], v[110:111], v[148:149], v[220:223]// 000000006EA4: D3E100DC 0773296E
	ds_write_b32 v18, v51 offset:20256                         // 000000006EAC: D81A4F20 00003312
	v_mfma_f32_16x16x16_bf16 v[224:227], v[112:113], v[148:149], v[224:227]// 000000006EB4: D3E100E0 07832970
	v_mfma_f32_16x16x16_bf16 v[228:231], v[114:115], v[148:149], v[228:231]// 000000006EBC: D3E100E4 07932972
	ds_write_b32 v18, v52 offset:22016                         // 000000006EC4: D81A5600 00003412
	ds_write_b32 v18, v53 offset:22560                         // 000000006ECC: D81A5820 00003512
	v_mfma_f32_16x16x16_bf16 v[232:235], v[116:117], v[148:149], v[232:235]// 000000006ED4: D3E100E8 07A32974
	v_mfma_f32_16x16x16_bf16 v[236:239], v[118:119], v[148:149], v[236:239]// 000000006EDC: D3E100EC 07B32976
	ds_write_b32 v13, v84 offset:4352                          // 000000006EE4: D81A1100 0000540D
	ds_write_b32 v13, v85 offset:5408                          // 000000006EEC: D81A1520 0000550D
	v_mfma_f32_16x16x16_bf16 v[240:243], v[120:121], v[148:149], v[240:243]// 000000006EF4: D3E100F0 07C32978
	s_nop 0                                                    // 000000006EFC: BF800000
	s_nop 0                                                    // 000000006F00: BF800000
	s_nop 0                                                    // 000000006F04: BF800000
	v_mfma_f32_16x16x16_bf16 v[244:247], v[122:123], v[148:149], v[244:247]// 000000006F08: D3E100F4 07D3297A
	ds_write_b32 v13, v86 offset:4480                          // 000000006F10: D81A1180 0000560D
	ds_write_b32 v13, v87 offset:5536                          // 000000006F18: D81A15A0 0000570D
	s_barrier                                                  // 000000006F20: BF8A0000
	v_mfma_f32_16x16x16_bf16 a[160:163], a[144:145], v[72:73], a[160:163]// 000000006F24: D3E180A0 0E829190
	buffer_atomic_add_f32 v136, v7, s[32:35], 0 offen          // 000000006F2C: E1341000 80088807
	v_mfma_f32_16x16x16_bf16 a[164:167], a[146:147], v[72:73], a[164:167]// 000000006F34: D3E180A4 0E929192
	ds_read_b32 v124, v21 offset:51200                         // 000000006F3C: D86CC800 7C000015
	ds_read_b32 v150, v21 offset:51456                         // 000000006F44: D86CC900 96000015
	v_mfma_f32_16x16x16_bf16 a[168:171], a[148:149], v[72:73], a[168:171]// 000000006F4C: D3E180A8 0EA29194
	s_waitcnt lgkmcnt(6)                                       // 000000006F54: BF8CC67F
	s_barrier                                                  // 000000006F58: BF8A0000
	v_mfma_f32_16x16x16_bf16 a[172:175], a[150:151], v[72:73], a[172:175]// 000000006F5C: D3E180AC 0EB29196
	ds_read_b128 v[48:51], v17 offset:17408                    // 000000006F64: D9FE4400 30000011
	v_mfma_f32_16x16x16_bf16 a[176:179], a[152:153], v[72:73], a[176:179]// 000000006F6C: D3E180B0 0EC29198
	v_mfma_f32_16x16x16_bf16 a[180:183], a[154:155], v[72:73], a[180:183]// 000000006F74: D3E180B4 0ED2919A
	ds_read_b128 v[52:55], v17 offset:18560                    // 000000006F7C: D9FE4880 34000011
	v_mfma_f32_16x16x16_bf16 a[184:187], a[156:157], v[72:73], a[184:187]// 000000006F84: D3E180B8 0EE2919C
	buffer_atomic_add_f32 v137, v8, s[32:35], 0 offen          // 000000006F8C: E1341000 80088908
	v_mfma_f32_16x16x16_bf16 a[188:191], a[158:159], v[72:73], a[188:191]// 000000006F94: D3E180BC 0EF2919E
	ds_read_b128 v[56:59], v17 offset:19712                    // 000000006F9C: D9FE4D00 38000011
	v_mfma_f32_16x16x16_bf16 a[192:195], a[144:145], v[74:75], a[192:195]// 000000006FA4: D3E180C0 0F029590
	v_mfma_f32_16x16x16_bf16 a[196:199], a[146:147], v[74:75], a[196:199]// 000000006FAC: D3E180C4 0F129592
	ds_read_b128 v[60:63], v17 offset:20864                    // 000000006FB4: D9FE5180 3C000011
	v_mfma_f32_16x16x16_bf16 a[200:203], a[148:149], v[74:75], a[200:203]// 000000006FBC: D3E180C8 0F229594
	v_mfma_f32_16x16x16_bf16 a[204:207], a[150:151], v[74:75], a[204:207]// 000000006FC4: D3E180CC 0F329596
	ds_read_b128 v[64:67], v17 offset:22016                    // 000000006FCC: D9FE5600 40000011
	v_mfma_f32_16x16x16_bf16 a[208:211], a[152:153], v[74:75], a[208:211]// 000000006FD4: D3E180D0 0F429598
	buffer_atomic_add_f32 v138, v7, s[32:35], 0 offen offset:128// 000000006FDC: E1341080 80088A07
	v_mfma_f32_16x16x16_bf16 a[212:215], a[154:155], v[74:75], a[212:215]// 000000006FE4: D3E180D4 0F52959A
	ds_read_b128 v[68:71], v17 offset:23168                    // 000000006FEC: D9FE5A80 44000011
	v_mfma_f32_16x16x16_bf16 a[216:219], a[156:157], v[74:75], a[216:219]// 000000006FF4: D3E180D8 0F62959C
	v_mfma_f32_16x16x16_bf16 a[220:223], a[158:159], v[74:75], a[220:223]// 000000006FFC: D3E180DC 0F72959E
	ds_write_b32 v13, v88 offset:13056                         // 000000007004: D81A3300 0000580D
	v_mfma_f32_16x16x16_bf16 a[224:227], a[144:145], v[76:77], a[224:227]// 00000000700C: D3E180E0 0F829990
	v_mfma_f32_16x16x16_bf16 a[228:231], a[146:147], v[76:77], a[228:231]// 000000007014: D3E180E4 0F929992
	ds_write_b32 v13, v89 offset:14112                         // 00000000701C: D81A3720 0000590D
	v_mfma_f32_16x16x16_bf16 a[232:235], a[148:149], v[76:77], a[232:235]// 000000007024: D3E180E8 0FA29994
	buffer_atomic_add_f32 v139, v8, s[32:35], 0 offen offset:128// 00000000702C: E1341080 80088B08
	v_mfma_f32_16x16x16_bf16 a[236:239], a[150:151], v[76:77], a[236:239]// 000000007034: D3E180EC 0FB29996
	ds_write_b32 v13, v90 offset:13184                         // 00000000703C: D81A3380 00005A0D
	v_mfma_f32_16x16x16_bf16 a[240:243], a[152:153], v[76:77], a[240:243]// 000000007044: D3E180F0 0FC29998
	v_mfma_f32_16x16x16_bf16 a[244:247], a[154:155], v[76:77], a[244:247]// 00000000704C: D3E180F4 0FD2999A
	ds_write_b32 v13, v91 offset:14240                         // 000000007054: D81A37A0 00005B0D
	v_mfma_f32_16x16x16_bf16 a[248:251], a[156:157], v[76:77], a[248:251]// 00000000705C: D3E180F8 0FE2999C
	v_mfma_f32_16x16x16_bf16 a[252:255], a[158:159], v[76:77], a[252:255]// 000000007064: D3E180FC 0FF2999E
	s_waitcnt vmcnt(8) lgkmcnt(4)                              // 00000000706C: BF8C0478
	s_barrier                                                  // 000000007070: BF8A0000
	v_mfma_f32_16x16x16_bf16 v[128:131], v[48:49], a[48:49], 0 // 000000007074: D3E10080 12026130
	v_mul_f32_e32 v124, s48, v124                              // 00000000707C: 0AF8F830
	s_nop 0                                                    // 000000007080: BF800000
	v_mfma_f32_16x16x16_bf16 v[128:131], v[50:51], a[52:53], v[128:131]// 000000007084: D3E10080 16026932
	ds_read_b128 a[144:147], v10                               // 00000000708C: DBFE0000 9000000A
	v_mov_b32_e32 v36, 0                                       // 000000007094: 7E480280
	s_mov_b64 exec, s[88:89]                                   // 000000007098: BEFE0158
	buffer_load_dword v36, v1, s[8:11], 0 idxen                // 00000000709C: E0502000 80022401
	s_mov_b64 exec, s[86:87]                                   // 0000000070A4: BEFE0156
	v_mfma_f32_16x16x16_bf16 v[128:131], v[52:53], a[56:57], v[128:131]// 0000000070A8: D3E10080 16027134
	v_mfma_f32_16x16x16_bf16 v[128:131], v[54:55], a[60:61], v[128:131]// 0000000070B0: D3E10080 16027936
	ds_read_b128 a[148:151], v10 offset:512                    // 0000000070B8: DBFE0200 9400000A
	v_mov_b32_e32 v37, 0                                       // 0000000070C0: 7E4A0280
	s_mov_b64 exec, s[88:89]                                   // 0000000070C4: BEFE0158
	buffer_load_dword v37, v2, s[8:11], 0 idxen                // 0000000070C8: E0502000 80022502
	s_mov_b64 exec, s[86:87]                                   // 0000000070D0: BEFE0156
	v_mfma_f32_16x16x16_bf16 v[128:131], v[56:57], a[64:65], v[128:131]// 0000000070D4: D3E10080 16028138
	v_perm_b32 v84, v33, v32, s63                              // 0000000070DC: D1ED0054 00FE4121
	v_perm_b32 v85, v33, v32, s64                              // 0000000070E4: D1ED0055 01024121
	v_mfma_f32_16x16x16_bf16 v[128:131], v[58:59], a[68:69], v[128:131]// 0000000070EC: D3E10080 1602893A
	ds_read_b128 a[152:155], v10 offset:2176                   // 0000000070F4: DBFE0880 9800000A
	v_mov_b32_e32 v38, 0                                       // 0000000070FC: 7E4C0280
	s_mov_b64 exec, s[88:89]                                   // 000000007100: BEFE0158
	buffer_load_dword v38, v3, s[8:11], 0 idxen                // 000000007104: E0502000 80022603
	s_mov_b64 exec, s[86:87]                                   // 00000000710C: BEFE0156
	v_mfma_f32_16x16x16_bf16 v[128:131], v[60:61], a[72:73], v[128:131]// 000000007110: D3E10080 1602913C
	v_perm_b32 v86, v35, v34, s63                              // 000000007118: D1ED0056 00FE4523
	v_perm_b32 v87, v35, v34, s64                              // 000000007120: D1ED0057 01024523
	v_mfma_f32_16x16x16_bf16 v[128:131], v[62:63], a[76:77], v[128:131]// 000000007128: D3E10080 1602993E
	ds_read_b128 a[156:159], v10 offset:2688                   // 000000007130: DBFE0A80 9C00000A
	v_mov_b32_e32 v39, 0                                       // 000000007138: 7E4E0280
	s_mov_b64 exec, s[88:89]                                   // 00000000713C: BEFE0158
	buffer_load_dword v39, v4, s[8:11], 0 idxen                // 000000007140: E0502000 80022704
	s_mov_b64 exec, s[86:87]                                   // 000000007148: BEFE0156
	v_mfma_f32_16x16x16_bf16 v[128:131], v[64:65], a[80:81], v[128:131]// 00000000714C: D3E10080 1602A140
	v_perm_b32 v88, v41, v40, s63                              // 000000007154: D1ED0058 00FE5129
	v_perm_b32 v89, v41, v40, s64                              // 00000000715C: D1ED0059 01025129
	v_mfma_f32_16x16x16_bf16 v[128:131], v[66:67], a[84:85], v[128:131]// 000000007164: D3E10080 1602A942
	ds_read_b128 v[92:95], v10 offset:8704                     // 00000000716C: D9FE2200 5C00000A
	v_mov_b32_e32 v44, 0                                       // 000000007174: 7E580280
	s_mov_b64 exec, s[88:89]                                   // 000000007178: BEFE0158
	buffer_load_dword v44, v252, s[20:23], 0 idxen             // 00000000717C: E0502000 80052CFC
	s_mov_b64 exec, s[86:87]                                   // 000000007184: BEFE0156
	v_mfma_f32_16x16x16_bf16 v[128:131], v[68:69], a[88:89], v[128:131]// 000000007188: D3E10080 1602B144
	v_perm_b32 v90, v43, v42, s63                              // 000000007190: D1ED005A 00FE552B
	v_perm_b32 v91, v43, v42, s64                              // 000000007198: D1ED005B 0102552B
	v_mfma_f32_16x16x16_bf16 v[128:131], v[70:71], a[92:93], v[128:131]// 0000000071A0: D3E10080 1602B946
	ds_read_b128 v[96:99], v10 offset:9216                     // 0000000071A8: D9FE2400 6000000A
	v_mov_b32_e32 v45, 0                                       // 0000000071B0: 7E5A0280
	s_mov_b64 exec, s[88:89]                                   // 0000000071B4: BEFE0158
	buffer_load_dword v45, v253, s[20:23], 0 idxen             // 0000000071B8: E0502000 80052DFD
	s_mov_b64 exec, s[86:87]                                   // 0000000071C0: BEFE0156
	v_mfma_f32_16x16x16_bf16 v[132:135], v[48:49], a[50:51], 0 // 0000000071C4: D3E10084 12026530
	v_mov_b32_dpp v127, v124 quad_perm:[3,3,3,3] row_mask:0xf bank_mask:0xf// 0000000071CC: 7EFE02FA FF00FF7C
	v_mov_b32_dpp v126, v124 quad_perm:[2,2,2,2] row_mask:0xf bank_mask:0xf// 0000000071D4: 7EFC02FA FF00AA7C
	v_mfma_f32_16x16x16_bf16 v[132:135], v[50:51], a[54:55], v[132:135]// 0000000071DC: D3E10084 16126D32
	ds_read_b128 v[100:103], v10 offset:10880                  // 0000000071E4: D9FE2A80 6400000A
	v_mov_b32_e32 v46, 0                                       // 0000000071EC: 7E5C0280
	s_mov_b64 exec, s[88:89]                                   // 0000000071F0: BEFE0158
	buffer_load_dword v46, v254, s[20:23], 0 idxen             // 0000000071F4: E0502000 80052EFE
	s_mov_b64 exec, s[86:87]                                   // 0000000071FC: BEFE0156
	v_mfma_f32_16x16x16_bf16 v[132:135], v[52:53], a[58:59], v[132:135]// 000000007200: D3E10084 16127534
	v_mov_b32_dpp v125, v124 quad_perm:[1,1,1,1] row_mask:0xf bank_mask:0xf// 000000007208: 7EFA02FA FF00557C
	v_mov_b32_dpp v124, v124 quad_perm:[0,0,0,0] row_mask:0xf bank_mask:0xf// 000000007210: 7EF802FA FF00007C
	s_add_u32 s60, 64, s59                                     // 000000007218: 803C3BC0
	v_mfma_f32_16x16x16_bf16 v[132:135], v[54:55], a[62:63], v[132:135]// 00000000721C: D3E10084 16127D36
	ds_read_b128 v[104:107], v10 offset:11392                  // 000000007224: D9FE2C80 6800000A
	v_mov_b32_e32 v47, 0                                       // 00000000722C: 7E5E0280
	s_mov_b64 exec, s[88:89]                                   // 000000007230: BEFE0158
	buffer_load_dword v47, v255, s[20:23], 0 idxen             // 000000007234: E0502000 80052FFF
	s_mov_b64 exec, s[86:87]                                   // 00000000723C: BEFE0156
	v_mfma_f32_16x16x16_bf16 v[132:135], v[56:57], a[66:67], v[132:135]// 000000007240: D3E10084 16128538
	s_cmp_lt_u32 s60, s58                                      // 000000007248: BF0A3A3C
	s_cselect_b32 s68, s68, 0                                  // 00000000724C: 85448044
	s_cselect_b32 s97, s97, 0                                  // 000000007250: 85618061
	s_cselect_b32 s69, s69, 0                                  // 000000007254: 85458045
	v_mfma_f32_16x16x16_bf16 v[132:135], v[58:59], a[70:71], v[132:135]// 000000007258: D3E10084 16128D3A
	buffer_load_dword v9, s[24:27], 0 idxen lds                // 000000007260: E0512000 80060009
	v_mfma_f32_16x16x16_bf16 v[132:135], v[60:61], a[74:75], v[132:135]// 000000007268: D3E10084 1612953C
	v_add_u32_e32 v1, s68, v1                                  // 000000007270: 68020244
	v_add_u32_e32 v2, s68, v2                                  // 000000007274: 68040444
	;; [unrolled: 1-line block ×3, first 2 shown]
	v_add_u32_e32 v4, s68, v4                                  // 00000000727C: 68080844
	v_mfma_f32_16x16x16_bf16 v[132:135], v[62:63], a[78:79], v[132:135]// 000000007280: D3E10084 16129D3E
	v_add_u32_e32 v252, s97, v252                              // 000000007288: 69F9F861
	v_add_u32_e32 v253, s97, v253                              // 00000000728C: 69FBFA61
	v_add_u32_e32 v254, s97, v254                              // 000000007290: 69FDFC61
	v_add_u32_e32 v255, s97, v255                              // 000000007294: 69FFFE61
	v_mfma_f32_16x16x16_bf16 v[132:135], v[64:65], a[82:83], v[132:135]// 000000007298: D3E10084 1612A540
	s_mov_b32 m0, s76                                          // 0000000072A0: BEFC004C
	v_add_u32_e32 v9, s69, v9                                  // 0000000072A4: 68121245
	v_mfma_f32_16x16x16_bf16 v[132:135], v[66:67], a[86:87], v[132:135]// 0000000072A8: D3E10084 1612AD42
	s_cmp_ge_u32 s59, 16                                       // 0000000072B0: BF09903B
	s_cselect_b32 s66, s67, s66                                // 0000000072B4: 85424243
	v_mfma_f32_16x16x16_bf16 v[132:135], v[68:69], a[90:91], v[132:135]// 0000000072B8: D3E10084 1612B544
	s_addk_i32 s59, 0x10                                       // 0000000072C0: B73B0010
	s_nop 0                                                    // 0000000072C4: BF800000
	s_cmp_lt_i32 s59, s58                                      // 0000000072C8: BF043A3B
	v_mfma_f32_16x16x16_bf16 v[132:135], v[70:71], a[94:95], v[132:135]// 0000000072CC: D3E10084 1612BD46
	s_cbranch_scc0 label_10B2                                  // 0000000072D4: BF840372
	s_waitcnt lgkmcnt(0)                                       // 0000000072D8: BF8CC07F
	s_barrier                                                  // 0000000072DC: BF8A0000
	v_mfma_f32_16x16x16_bf16 v[48:51], a[144:145], a[0:1], 0   // 0000000072E0: D3E10030 1A020190
	ds_write_b32 v11, v40 offset:8704                          // 0000000072E8: D81A2200 0000280B
	ds_write_b32 v11, v41 offset:9760                          // 0000000072F0: D81A2620 0000290B
	v_mfma_f32_16x16x16_bf16 v[48:51], a[146:147], a[2:3], v[48:51]// 0000000072F8: D3E10030 1CC20592
	v_mul_f32_e32 v128, s47, v128                              // 000000007300: 0B01002F
	v_mul_f32_e32 v129, s47, v129                              // 000000007304: 0B03022F
	v_mfma_f32_16x16x16_bf16 v[48:51], a[148:149], a[4:5], v[48:51]// 000000007308: D3E10030 1CC20994
	ds_write_b32 v11, v42 offset:8832                          // 000000007310: D81A2280 00002A0B
	ds_write_b32 v11, v43 offset:9888                          // 000000007318: D81A26A0 00002B0B
	v_mfma_f32_16x16x16_bf16 v[48:51], a[150:151], a[6:7], v[48:51]// 000000007320: D3E10030 1CC20D96
	v_mul_f32_e32 v130, s47, v130                              // 000000007328: 0B05042F
	v_mul_f32_e32 v131, s47, v131                              // 00000000732C: 0B07062F
	v_mfma_f32_16x16x16_bf16 v[48:51], a[152:153], a[8:9], v[48:51]// 000000007330: D3E10030 1CC21198
	ds_write_b64 v20, v[128:129] offset:24320                  // 000000007338: D89A5F00 00008014
	v_mfma_f32_16x16x16_bf16 v[48:51], a[154:155], a[10:11], v[48:51]// 000000007340: D3E10030 1CC2159A
	v_mul_f32_e32 v132, s47, v132                              // 000000007348: 0B09082F
	v_mul_f32_e32 v133, s47, v133                              // 00000000734C: 0B0B0A2F
	v_mfma_f32_16x16x16_bf16 v[48:51], a[156:157], a[12:13], v[48:51]// 000000007350: D3E10030 1CC2199C
	ds_write_b64 v20, v[130:131] offset:24832                  // 000000007358: D89A6100 00008214
	v_mfma_f32_16x16x16_bf16 v[48:51], a[158:159], a[14:15], v[48:51]// 000000007360: D3E10030 1CC21D9E
	v_mul_f32_e32 v134, s47, v134                              // 000000007368: 0B0D0C2F
	v_mul_f32_e32 v135, s47, v135                              // 00000000736C: 0B0F0E2F
	v_mfma_f32_16x16x16_bf16 v[52:55], a[144:145], a[16:17], 0 // 000000007370: D3E10034 1A022190
	ds_write_b64 v20, v[132:133] offset:25344                  // 000000007378: D89A6300 00008414
	v_mfma_f32_16x16x16_bf16 v[52:55], a[146:147], a[18:19], v[52:55]// 000000007380: D3E10034 1CD22592
	buffer_atomic_add_f32 v140, v7, s[32:35], 0 offen offset:256// 000000007388: E1341100 80088C07
	v_mfma_f32_16x16x16_bf16 v[52:55], a[148:149], a[20:21], v[52:55]// 000000007390: D3E10034 1CD22994
	ds_write_b64 v20, v[134:135] offset:25856                  // 000000007398: D89A6500 00008614
	v_mfma_f32_16x16x16_bf16 v[52:55], a[150:151], a[22:23], v[52:55]// 0000000073A0: D3E10034 1CD22D96
	v_mfma_f32_16x16x16_bf16 v[52:55], a[152:153], a[24:25], v[52:55]// 0000000073A8: D3E10034 1CD23198
	ds_read_b128 v[108:111], v12 offset:13056                  // 0000000073B0: D9FE3300 6C00000C
	ds_write_b32 v11, v32                                      // 0000000073B8: D81A0000 0000200B
	v_mfma_f32_16x16x16_bf16 v[52:55], a[154:155], a[26:27], v[52:55]// 0000000073C0: D3E10034 1CD2359A
	buffer_atomic_add_f32 v141, v8, s[32:35], 0 offen offset:256// 0000000073C8: E1341100 80088D08
	v_mfma_f32_16x16x16_bf16 v[52:55], a[156:157], a[28:29], v[52:55]// 0000000073D0: D3E10034 1CD2399C
	v_mfma_f32_16x16x16_bf16 v[52:55], a[158:159], a[30:31], v[52:55]// 0000000073D8: D3E10034 1CD23D9E
	ds_read_b128 v[112:115], v12 offset:13568                  // 0000000073E0: D9FE3500 7000000C
	ds_write_b32 v11, v33 offset:1056                          // 0000000073E8: D81A0420 0000210B
	v_mfma_f32_16x16x16_bf16 v[56:59], a[144:145], a[32:33], 0 // 0000000073F0: D3E10038 1A024190
	buffer_atomic_add_f32 v142, v7, s[32:35], 0 offen offset:384// 0000000073F8: E1341180 80088E07
	v_mfma_f32_16x16x16_bf16 v[56:59], a[146:147], a[34:35], v[56:59]// 000000007400: D3E10038 1CE24592
	v_mfma_f32_16x16x16_bf16 v[56:59], a[148:149], a[36:37], v[56:59]// 000000007408: D3E10038 1CE24994
	ds_read_b128 v[116:119], v12 offset:15232                  // 000000007410: D9FE3B80 7400000C
	ds_write_b32 v11, v34 offset:128                           // 000000007418: D81A0080 0000220B
	v_mfma_f32_16x16x16_bf16 v[56:59], a[150:151], a[38:39], v[56:59]// 000000007420: D3E10038 1CE24D96
	v_mfma_f32_16x16x16_bf16 v[56:59], a[152:153], a[40:41], v[56:59]// 000000007428: D3E10038 1CE25198
	buffer_atomic_add_f32 v143, v8, s[32:35], 0 offen offset:384// 000000007430: E1341180 80088F08
	v_mfma_f32_16x16x16_bf16 v[56:59], a[154:155], a[42:43], v[56:59]// 000000007438: D3E10038 1CE2559A
	ds_read_b128 v[120:123], v12 offset:15744                  // 000000007440: D9FE3D80 7800000C
	ds_write_b32 v11, v35 offset:1184                          // 000000007448: D81A04A0 0000230B
	v_mfma_f32_16x16x16_bf16 v[56:59], a[156:157], a[44:45], v[56:59]// 000000007450: D3E10038 1CE2599C
	v_mfma_f32_16x16x16_bf16 v[56:59], a[158:159], a[46:47], v[56:59]// 000000007458: D3E10038 1CE25D9E
	s_cmp_lt_i32 s99, 0xc0                                     // 000000007460: BF04FF63 000000C0
	s_cbranch_scc0 label_0DF2                                  // 000000007468: BF84004D
	s_cmp_le_i32 s99, 64                                       // 00000000746C: BF05C063
	s_cbranch_scc1 label_0DA9                                  // 000000007470: BF850007
	s_cmp_le_i32 s99, 0x80                                     // 000000007474: BF05FF63 00000080
	s_cbranch_scc1 label_0DC1                                  // 00000000747C: BF850017
	s_cmp_lt_i32 s99, 0xc0                                     // 000000007480: BF04FF63 000000C0
	s_cbranch_scc1 label_0DD9                                  // 000000007488: BF85002C
	s_branch label_0DF2                                        // 00000000748C: BF820044

0000000000007490 <label_0DA9>:
	s_mov_b32 s60, 0                                           // 000000007490: BEBC0080
	v_and_b32_e32 v28, 15, v0                                  // 000000007494: 2638008F
	v_add_u32_e64 v28, v28, s60                                // 000000007498: D134001C 0000791C
	v_mul_i32_i24_e64 v29, s46, 16                             // 0000000074A0: D106001D 0001202E
	v_add_u32_e32 v28, v28, v29                                // 0000000074A8: 68383B1C
	v_cmp_lt_u32_e64 s[60:61], v28, s99                        // 0000000074AC: D0C9003C 0000C71C
	s_nop 1                                                    // 0000000074B4: BF800001
	v_cndmask_b32_e64 v48, v151, v48, s[60:61]                 // 0000000074B8: D1000030 00F26197
	v_cndmask_b32_e64 v49, v151, v49, s[60:61]                 // 0000000074C0: D1000031 00F26397
	v_cndmask_b32_e64 v50, v151, v50, s[60:61]                 // 0000000074C8: D1000032 00F26597
	v_cndmask_b32_e64 v51, v151, v51, s[60:61]                 // 0000000074D0: D1000033 00F26797
	s_branch label_0DD4                                        // 0000000074D8: BF820013

00000000000074dc <label_0DC1>:
	s_mov_b32 s60, 64                                          // 0000000074DC: BEBC00C0
	v_and_b32_e32 v28, 15, v0                                  // 0000000074E0: 2638008F
	v_add_u32_e64 v28, v28, s60                                // 0000000074E4: D134001C 0000791C
	v_mul_i32_i24_e64 v29, s46, 16                             // 0000000074EC: D106001D 0001202E
	v_add_u32_e32 v28, v28, v29                                // 0000000074F4: 68383B1C
	v_cmp_lt_u32_e64 s[60:61], v28, s99                        // 0000000074F8: D0C9003C 0000C71C
	s_nop 1                                                    // 000000007500: BF800001
	v_cndmask_b32_e64 v52, v151, v52, s[60:61]                 // 000000007504: D1000034 00F26997
	v_cndmask_b32_e64 v53, v151, v53, s[60:61]                 // 00000000750C: D1000035 00F26B97
	v_cndmask_b32_e64 v54, v151, v54, s[60:61]                 // 000000007514: D1000036 00F26D97
	v_cndmask_b32_e64 v55, v151, v55, s[60:61]                 // 00000000751C: D1000037 00F26F97
	s_branch label_0DED                                        // 000000007524: BF820019

0000000000007528 <label_0DD4>:
	v_mov_b32_e32 v52, v151                                    // 000000007528: 7E680397
	v_mov_b32_e32 v53, v151                                    // 00000000752C: 7E6A0397
	v_mov_b32_e32 v54, v151                                    // 000000007530: 7E6C0397
	v_mov_b32_e32 v55, v151                                    // 000000007534: 7E6E0397
	s_branch label_0DED                                        // 000000007538: BF820014

000000000000753c <label_0DD9>:
	s_mov_b32 s60, 0x80                                        // 00000000753C: BEBC00FF 00000080
	v_and_b32_e32 v28, 15, v0                                  // 000000007544: 2638008F
	v_add_u32_e64 v28, v28, s60                                // 000000007548: D134001C 0000791C
	v_mul_i32_i24_e64 v29, s46, 16                             // 000000007550: D106001D 0001202E
	v_add_u32_e32 v28, v28, v29                                // 000000007558: 68383B1C
	v_cmp_lt_u32_e64 s[60:61], v28, s99                        // 00000000755C: D0C9003C 0000C71C
	s_nop 1                                                    // 000000007564: BF800001
	v_cndmask_b32_e64 v56, v151, v56, s[60:61]                 // 000000007568: D1000038 00F27197
	v_cndmask_b32_e64 v57, v151, v57, s[60:61]                 // 000000007570: D1000039 00F27397
	v_cndmask_b32_e64 v58, v151, v58, s[60:61]                 // 000000007578: D100003A 00F27597
	v_cndmask_b32_e64 v59, v151, v59, s[60:61]                 // 000000007580: D100003B 00F27797
	s_branch label_0DF2                                        // 000000007588: BF820005

000000000000758c <label_0DED>:
	v_mov_b32_e32 v56, v151                                    // 00000000758C: 7E700397
	v_mov_b32_e32 v57, v151                                    // 000000007590: 7E720397
	v_mov_b32_e32 v58, v151                                    // 000000007594: 7E740397
	v_mov_b32_e32 v59, v151                                    // 000000007598: 7E760397
	s_branch label_0DF2                                        // 00000000759C: BF820000

00000000000075a0 <label_0DF2>:
	s_waitcnt lgkmcnt(8)                                       // 0000000075A0: BF8CC87F
	s_barrier                                                  // 0000000075A4: BF8A0000
	v_mfma_f32_16x16x16_bf16 v[72:75], v[92:93], a[96:97], 0   // 0000000075A8: D3E10048 1202C15C
	ds_read_b128 a[144:147], v12 offset:4352                   // 0000000075B0: DBFE1100 9000000C
	ds_read_b128 a[148:151], v12 offset:4864                   // 0000000075B8: DBFE1300 9400000C
	v_mfma_f32_16x16x16_bf16 v[72:75], v[94:95], a[98:99], v[72:75]// 0000000075C0: D3E10048 1522C55E
	v_fma_f32 v48, v48, s57, -v124                             // 0000000075C8: D1CB0030 85F07330
	v_fma_f32 v49, v49, s57, -v125                             // 0000000075D0: D1CB0031 85F47331
	v_fma_f32 v50, v50, s57, -v126                             // 0000000075D8: D1CB0032 85F87332
	v_mfma_f32_16x16x16_bf16 v[72:75], v[96:97], a[100:101], v[72:75]// 0000000075E0: D3E10048 1522C960
	v_fma_f32 v51, v51, s57, -v127                             // 0000000075E8: D1CB0033 85FC7333
	v_fma_f32 v52, v52, s57, -v124                             // 0000000075F0: D1CB0034 85F07334
	v_fma_f32 v53, v53, s57, -v125                             // 0000000075F8: D1CB0035 85F47335
	v_mfma_f32_16x16x16_bf16 v[72:75], v[98:99], a[102:103], v[72:75]// 000000007600: D3E10048 1522CD62
	v_fma_f32 v54, v54, s57, -v126                             // 000000007608: D1CB0036 85F87336
	v_fma_f32 v55, v55, s57, -v127                             // 000000007610: D1CB0037 85FC7337
	v_fma_f32 v56, v56, s57, -v124                             // 000000007618: D1CB0038 85F07338
	v_mfma_f32_16x16x16_bf16 v[72:75], v[100:101], a[104:105], v[72:75]// 000000007620: D3E10048 1522D164
	ds_read_b128 a[152:155], v12 offset:6528                   // 000000007628: DBFE1980 9800000C
	ds_read_b128 a[156:159], v12 offset:7040                   // 000000007630: DBFE1B80 9C00000C
	v_mfma_f32_16x16x16_bf16 v[72:75], v[102:103], a[106:107], v[72:75]// 000000007638: D3E10048 1522D566
	v_fma_f32 v57, v57, s57, -v125                             // 000000007640: D1CB0039 85F47339
	v_fma_f32 v58, v58, s57, -v126                             // 000000007648: D1CB003A 85F8733A
	v_fma_f32 v59, v59, s57, -v127                             // 000000007650: D1CB003B 85FC733B
	v_mfma_f32_16x16x16_bf16 v[72:75], v[104:105], a[108:109], v[72:75]// 000000007658: D3E10048 1522D968
	v_exp_f32_e32 v48, v48                                     // 000000007660: 7E604130
	v_mfma_f32_16x16x16_bf16 v[72:75], v[106:107], a[110:111], v[72:75]// 000000007664: D3E10048 1522DD6A
	v_exp_f32_e32 v49, v49                                     // 00000000766C: 7E624131
	v_mfma_f32_16x16x16_bf16 v[76:79], v[92:93], a[112:113], 0 // 000000007670: D3E1004C 1202E15C
	ds_read_b64 v[136:137], v19 offset:24320                   // 000000007678: D8EC5F00 88000013
	ds_read_b64 v[138:139], v19 offset:26368                   // 000000007680: D8EC6700 8A000013
	v_mfma_f32_16x16x16_bf16 v[76:79], v[94:95], a[114:115], v[76:79]// 000000007688: D3E1004C 1532E55E
	v_exp_f32_e32 v50, v50                                     // 000000007690: 7E644132
	v_mfma_f32_16x16x16_bf16 v[76:79], v[96:97], a[116:117], v[76:79]// 000000007694: D3E1004C 1532E960
	ds_read_b64 v[140:141], v19 offset:28416                   // 00000000769C: D8EC6F00 8C000013
	ds_read_b64 v[142:143], v19 offset:30464                   // 0000000076A4: D8EC7700 8E000013
	v_mfma_f32_16x16x16_bf16 v[76:79], v[98:99], a[118:119], v[76:79]// 0000000076AC: D3E1004C 1532ED62
	v_exp_f32_e32 v51, v51                                     // 0000000076B4: 7E664133
	v_mfma_f32_16x16x16_bf16 v[76:79], v[100:101], a[120:121], v[76:79]// 0000000076B8: D3E1004C 1532F164
	v_exp_f32_e32 v52, v52                                     // 0000000076C0: 7E684134
	v_mfma_f32_16x16x16_bf16 v[76:79], v[102:103], a[122:123], v[76:79]// 0000000076C4: D3E1004C 1532F566
	v_exp_f32_e32 v53, v53                                     // 0000000076CC: 7E6A4135
	v_mfma_f32_16x16x16_bf16 v[76:79], v[104:105], a[124:125], v[76:79]// 0000000076D0: D3E1004C 1532F968
	v_exp_f32_e32 v54, v54                                     // 0000000076D8: 7E6C4136
	v_mfma_f32_16x16x16_bf16 v[76:79], v[106:107], a[126:127], v[76:79]// 0000000076DC: D3E1004C 1532FD6A
	v_exp_f32_e32 v55, v55                                     // 0000000076E4: 7E6E4137
	v_mfma_f32_16x16x16_bf16 v[80:83], v[92:93], a[128:129], 0 // 0000000076E8: D3E10050 1203015C
	v_exp_f32_e32 v56, v56                                     // 0000000076F0: 7E704138
	v_mfma_f32_16x16x16_bf16 v[80:83], v[94:95], a[130:131], v[80:83]// 0000000076F4: D3E10050 1543055E
	v_exp_f32_e32 v57, v57                                     // 0000000076FC: 7E724139
	v_mfma_f32_16x16x16_bf16 v[80:83], v[96:97], a[132:133], v[80:83]// 000000007700: D3E10050 15430960
	v_exp_f32_e32 v58, v58                                     // 000000007708: 7E74413A
	v_mfma_f32_16x16x16_bf16 v[80:83], v[98:99], a[134:135], v[80:83]// 00000000770C: D3E10050 15430D62
	v_exp_f32_e32 v59, v59                                     // 000000007714: 7E76413B
	v_mfma_f32_16x16x16_bf16 v[80:83], v[100:101], a[136:137], v[80:83]// 000000007718: D3E10050 15431164
	v_cmp_u_f32_e64 s[74:75], v48, v48                         // 000000007720: D048004A 00026130
	v_bfe_u32 v248, v48, 16, 1                                 // 000000007728: D1C800F8 02052130
	v_add3_u32 v248, v48, v248, v251                           // 000000007730: D1FF00F8 07EFF130
	v_cndmask_b32_e64 v28, v248, v250, s[74:75]                // 000000007738: D100001C 012BF5F8
	v_lshrrev_b32_e32 v28, 16, v28                             // 000000007740: 20383890
	v_cmp_u_f32_e64 s[74:75], v49, v49                         // 000000007744: D048004A 00026331
	v_bfe_u32 v248, v49, 16, 1                                 // 00000000774C: D1C800F8 02052131
	v_add3_u32 v248, v49, v248, v251                           // 000000007754: D1FF00F8 07EFF131
	v_cndmask_b32_e64 v29, v248, v250, s[74:75]                // 00000000775C: D100001D 012BF5F8
	v_and_or_b32 v144, v29, v249, v28                          // 000000007764: D2010090 0473F31D
	v_cmp_u_f32_e64 s[74:75], v50, v50                         // 00000000776C: D048004A 00026532
	v_bfe_u32 v248, v50, 16, 1                                 // 000000007774: D1C800F8 02052132
	v_add3_u32 v248, v50, v248, v251                           // 00000000777C: D1FF00F8 07EFF132
	v_cndmask_b32_e64 v28, v248, v250, s[74:75]                // 000000007784: D100001C 012BF5F8
	v_lshrrev_b32_e32 v28, 16, v28                             // 00000000778C: 20383890
	v_cmp_u_f32_e64 s[74:75], v51, v51                         // 000000007790: D048004A 00026733
	v_bfe_u32 v248, v51, 16, 1                                 // 000000007798: D1C800F8 02052133
	v_add3_u32 v248, v51, v248, v251                           // 0000000077A0: D1FF00F8 07EFF133
	v_cndmask_b32_e64 v29, v248, v250, s[74:75]                // 0000000077A8: D100001D 012BF5F8
	v_and_or_b32 v145, v29, v249, v28                          // 0000000077B0: D2010091 0473F31D
	v_cmp_u_f32_e64 s[74:75], v52, v52                         // 0000000077B8: D048004A 00026934
	v_bfe_u32 v248, v52, 16, 1                                 // 0000000077C0: D1C800F8 02052134
	v_add3_u32 v248, v52, v248, v251                           // 0000000077C8: D1FF00F8 07EFF134
	v_cndmask_b32_e64 v28, v248, v250, s[74:75]                // 0000000077D0: D100001C 012BF5F8
	v_lshrrev_b32_e32 v28, 16, v28                             // 0000000077D8: 20383890
	v_cmp_u_f32_e64 s[74:75], v53, v53                         // 0000000077DC: D048004A 00026B35
	v_bfe_u32 v248, v53, 16, 1                                 // 0000000077E4: D1C800F8 02052135
	v_add3_u32 v248, v53, v248, v251                           // 0000000077EC: D1FF00F8 07EFF135
	v_cndmask_b32_e64 v29, v248, v250, s[74:75]                // 0000000077F4: D100001D 012BF5F8
	v_and_or_b32 v146, v29, v249, v28                          // 0000000077FC: D2010092 0473F31D
	v_mfma_f32_16x16x16_bf16 v[80:83], v[102:103], a[138:139], v[80:83]// 000000007804: D3E10050 15431566
	v_cmp_u_f32_e64 s[74:75], v54, v54                         // 00000000780C: D048004A 00026D36
	v_bfe_u32 v248, v54, 16, 1                                 // 000000007814: D1C800F8 02052136
	v_add3_u32 v248, v54, v248, v251                           // 00000000781C: D1FF00F8 07EFF136
	v_cndmask_b32_e64 v28, v248, v250, s[74:75]                // 000000007824: D100001C 012BF5F8
	v_lshrrev_b32_e32 v28, 16, v28                             // 00000000782C: 20383890
	v_cmp_u_f32_e64 s[74:75], v55, v55                         // 000000007830: D048004A 00026F37
	v_bfe_u32 v248, v55, 16, 1                                 // 000000007838: D1C800F8 02052137
	v_add3_u32 v248, v55, v248, v251                           // 000000007840: D1FF00F8 07EFF137
	v_cndmask_b32_e64 v29, v248, v250, s[74:75]                // 000000007848: D100001D 012BF5F8
	v_and_or_b32 v147, v29, v249, v28                          // 000000007850: D2010093 0473F31D
	v_cmp_u_f32_e64 s[74:75], v56, v56                         // 000000007858: D048004A 00027138
	v_bfe_u32 v248, v56, 16, 1                                 // 000000007860: D1C800F8 02052138
	v_add3_u32 v248, v56, v248, v251                           // 000000007868: D1FF00F8 07EFF138
	v_cndmask_b32_e64 v28, v248, v250, s[74:75]                // 000000007870: D100001C 012BF5F8
	v_lshrrev_b32_e32 v28, 16, v28                             // 000000007878: 20383890
	v_cmp_u_f32_e64 s[74:75], v57, v57                         // 00000000787C: D048004A 00027339
	v_bfe_u32 v248, v57, 16, 1                                 // 000000007884: D1C800F8 02052139
	v_add3_u32 v248, v57, v248, v251                           // 00000000788C: D1FF00F8 07EFF139
	v_cndmask_b32_e64 v29, v248, v250, s[74:75]                // 000000007894: D100001D 012BF5F8
	v_and_or_b32 v148, v29, v249, v28                          // 00000000789C: D2010094 0473F31D
	v_cmp_u_f32_e64 s[74:75], v58, v58                         // 0000000078A4: D048004A 0002753A
	v_bfe_u32 v248, v58, 16, 1                                 // 0000000078AC: D1C800F8 0205213A
	v_add3_u32 v248, v58, v248, v251                           // 0000000078B4: D1FF00F8 07EFF13A
	v_cndmask_b32_e64 v28, v248, v250, s[74:75]                // 0000000078BC: D100001C 012BF5F8
	v_lshrrev_b32_e32 v28, 16, v28                             // 0000000078C4: 20383890
	v_cmp_u_f32_e64 s[74:75], v59, v59                         // 0000000078C8: D048004A 0002773B
	v_bfe_u32 v248, v59, 16, 1                                 // 0000000078D0: D1C800F8 0205213B
	v_add3_u32 v248, v59, v248, v251                           // 0000000078D8: D1FF00F8 07EFF13B
	v_cndmask_b32_e64 v29, v248, v250, s[74:75]                // 0000000078E0: D100001D 012BF5F8
	v_and_or_b32 v149, v29, v249, v28                          // 0000000078E8: D2010095 0473F31D
	v_mfma_f32_16x16x16_bf16 v[80:83], v[104:105], a[140:141], v[80:83]// 0000000078F0: D3E10050 15431968
	v_add_u32_e32 v7, s66, v7                                  // 0000000078F8: 680E0E42
	v_add_u32_e32 v8, s66, v8                                  // 0000000078FC: 68101042
	v_mfma_f32_16x16x16_bf16 v[80:83], v[106:107], a[142:143], v[80:83]// 000000007900: D3E10050 15431D6A
	s_waitcnt lgkmcnt(0)                                       // 000000007908: BF8CC07F
	s_barrier                                                  // 00000000790C: BF8A0000
	v_mfma_f32_16x16x16_bf16 v[152:155], v[108:109], v[144:145], v[152:155]// 000000007910: D3E10098 0663216C
	v_subrev_f32_dpp v72, v150, v72 quad_perm:[0,0,0,0] row_mask:0xf bank_mask:0xf// 000000007918: 069090FA FF000096
	v_subrev_f32_dpp v73, v150, v73 quad_perm:[1,1,1,1] row_mask:0xf bank_mask:0xf// 000000007920: 069292FA FF005596
	v_subrev_f32_dpp v74, v150, v74 quad_perm:[2,2,2,2] row_mask:0xf bank_mask:0xf// 000000007928: 069494FA FF00AA96
	v_mfma_f32_16x16x16_bf16 v[156:159], v[110:111], v[144:145], v[156:159]// 000000007930: D3E1009C 0673216E
	v_subrev_f32_dpp v75, v150, v75 quad_perm:[3,3,3,3] row_mask:0xf bank_mask:0xf// 000000007938: 069696FA FF00FF96
	v_subrev_f32_dpp v76, v150, v76 quad_perm:[0,0,0,0] row_mask:0xf bank_mask:0xf// 000000007940: 069898FA FF000096
	v_subrev_f32_dpp v77, v150, v77 quad_perm:[1,1,1,1] row_mask:0xf bank_mask:0xf// 000000007948: 069A9AFA FF005596
	v_mfma_f32_16x16x16_bf16 v[160:163], v[112:113], v[144:145], v[160:163]// 000000007950: D3E100A0 06832170
	v_mul_f32_e32 v72, v48, v72                                // 000000007958: 0A909130
	v_mul_f32_e32 v73, v49, v73                                // 00000000795C: 0A929331
	v_mul_f32_e32 v74, v50, v74                                // 000000007960: 0A949532
	v_mfma_f32_16x16x16_bf16 v[164:167], v[114:115], v[144:145], v[164:167]// 000000007964: D3E100A4 06932172
	v_mul_f32_e32 v75, v51, v75                                // 00000000796C: 0A969733
	v_mul_f32_e32 v76, v52, v76                                // 000000007970: 0A989934
	v_mul_f32_e32 v77, v53, v77                                // 000000007974: 0A9A9B35
	v_mfma_f32_16x16x16_bf16 v[168:171], v[116:117], v[144:145], v[168:171]// 000000007978: D3E100A8 06A32174
	v_cmp_u_f32_e64 s[74:75], v72, v72                         // 000000007980: D048004A 00029148
	v_bfe_u32 v248, v72, 16, 1                                 // 000000007988: D1C800F8 02052148
	v_add3_u32 v248, v72, v248, v251                           // 000000007990: D1FF00F8 07EFF148
	v_cndmask_b32_e64 v28, v248, v250, s[74:75]                // 000000007998: D100001C 012BF5F8
	v_lshrrev_b32_e32 v28, 16, v28                             // 0000000079A0: 20383890
	v_cmp_u_f32_e64 s[74:75], v73, v73                         // 0000000079A4: D048004A 00029349
	v_bfe_u32 v248, v73, 16, 1                                 // 0000000079AC: D1C800F8 02052149
	v_add3_u32 v248, v73, v248, v251                           // 0000000079B4: D1FF00F8 07EFF149
	v_cndmask_b32_e64 v29, v248, v250, s[74:75]                // 0000000079BC: D100001D 012BF5F8
	v_and_or_b32 v72, v29, v249, v28                           // 0000000079C4: D2010048 0473F31D
	v_cmp_u_f32_e64 s[74:75], v74, v74                         // 0000000079CC: D048004A 0002954A
	v_bfe_u32 v248, v74, 16, 1                                 // 0000000079D4: D1C800F8 0205214A
	v_add3_u32 v248, v74, v248, v251                           // 0000000079DC: D1FF00F8 07EFF14A
	v_cndmask_b32_e64 v28, v248, v250, s[74:75]                // 0000000079E4: D100001C 012BF5F8
	v_lshrrev_b32_e32 v28, 16, v28                             // 0000000079EC: 20383890
	v_cmp_u_f32_e64 s[74:75], v75, v75                         // 0000000079F0: D048004A 0002974B
	v_bfe_u32 v248, v75, 16, 1                                 // 0000000079F8: D1C800F8 0205214B
	v_add3_u32 v248, v75, v248, v251                           // 000000007A00: D1FF00F8 07EFF14B
	v_cndmask_b32_e64 v29, v248, v250, s[74:75]                // 000000007A08: D100001D 012BF5F8
	v_and_or_b32 v73, v29, v249, v28                           // 000000007A10: D2010049 0473F31D
	v_cmp_u_f32_e64 s[74:75], v76, v76                         // 000000007A18: D048004A 0002994C
	v_bfe_u32 v248, v76, 16, 1                                 // 000000007A20: D1C800F8 0205214C
	v_add3_u32 v248, v76, v248, v251                           // 000000007A28: D1FF00F8 07EFF14C
	v_cndmask_b32_e64 v28, v248, v250, s[74:75]                // 000000007A30: D100001C 012BF5F8
	v_lshrrev_b32_e32 v28, 16, v28                             // 000000007A38: 20383890
	v_cmp_u_f32_e64 s[74:75], v77, v77                         // 000000007A3C: D048004A 00029B4D
	v_bfe_u32 v248, v77, 16, 1                                 // 000000007A44: D1C800F8 0205214D
	v_add3_u32 v248, v77, v248, v251                           // 000000007A4C: D1FF00F8 07EFF14D
	v_cndmask_b32_e64 v29, v248, v250, s[74:75]                // 000000007A54: D100001D 012BF5F8
	v_and_or_b32 v74, v29, v249, v28                           // 000000007A5C: D201004A 0473F31D
	v_mfma_f32_16x16x16_bf16 v[172:175], v[118:119], v[144:145], v[172:175]// 000000007A64: D3E100AC 06B32176
	v_mov_b32_dpp v16, v72 quad_perm:[1,0,3,2] row_mask:0xf bank_mask:0xf// 000000007A6C: 7E2002FA FF00B148
	v_perm_b32 v48, v16, v72, v15                              // 000000007A74: D1ED0030 043E9110
	v_mov_b32_dpp v16, v73 quad_perm:[1,0,3,2] row_mask:0xf bank_mask:0xf// 000000007A7C: 7E2002FA FF00B149
	v_mfma_f32_16x16x16_bf16 v[176:179], v[120:121], v[144:145], v[176:179]// 000000007A84: D3E100B0 06C32178
	v_perm_b32 v49, v16, v73, v15                              // 000000007A8C: D1ED0031 043E9310
	v_mov_b32_dpp v16, v74 quad_perm:[1,0,3,2] row_mask:0xf bank_mask:0xf// 000000007A94: 7E2002FA FF00B14A
	v_perm_b32 v50, v16, v74, v15                              // 000000007A9C: D1ED0032 043E9510
	v_mfma_f32_16x16x16_bf16 v[180:183], v[122:123], v[144:145], v[180:183]// 000000007AA4: D3E100B4 06D3217A
	ds_write_b32 v18, v48 offset:17408                         // 000000007AAC: D81A4400 00003012
	v_mfma_f32_16x16x16_bf16 v[184:187], v[108:109], v[146:147], v[184:187]// 000000007AB4: D3E100B8 06E3256C
	v_subrev_f32_dpp v78, v150, v78 quad_perm:[2,2,2,2] row_mask:0xf bank_mask:0xf// 000000007ABC: 069C9CFA FF00AA96
	v_subrev_f32_dpp v79, v150, v79 quad_perm:[3,3,3,3] row_mask:0xf bank_mask:0xf// 000000007AC4: 069E9EFA FF00FF96
	v_subrev_f32_dpp v80, v150, v80 quad_perm:[0,0,0,0] row_mask:0xf bank_mask:0xf// 000000007ACC: 06A0A0FA FF000096
	v_mfma_f32_16x16x16_bf16 v[188:191], v[110:111], v[146:147], v[188:191]// 000000007AD4: D3E100BC 06F3256E
	ds_write_b32 v18, v49 offset:17952                         // 000000007ADC: D81A4620 00003112
	v_mfma_f32_16x16x16_bf16 v[192:195], v[112:113], v[146:147], v[192:195]// 000000007AE4: D3E100C0 07032570
	v_subrev_f32_dpp v81, v150, v81 quad_perm:[1,1,1,1] row_mask:0xf bank_mask:0xf// 000000007AEC: 06A2A2FA FF005596
	v_subrev_f32_dpp v82, v150, v82 quad_perm:[2,2,2,2] row_mask:0xf bank_mask:0xf// 000000007AF4: 06A4A4FA FF00AA96
	v_subrev_f32_dpp v83, v150, v83 quad_perm:[3,3,3,3] row_mask:0xf bank_mask:0xf// 000000007AFC: 06A6A6FA FF00FF96
	v_mfma_f32_16x16x16_bf16 v[196:199], v[114:115], v[146:147], v[196:199]// 000000007B04: D3E100C4 07132572
	ds_write_b32 v18, v50 offset:19712                         // 000000007B0C: D81A4D00 00003212
	v_mfma_f32_16x16x16_bf16 v[200:203], v[116:117], v[146:147], v[200:203]// 000000007B14: D3E100C8 07232574
	v_mul_f32_e32 v78, v54, v78                                // 000000007B1C: 0A9C9D36
	v_mul_f32_e32 v79, v55, v79                                // 000000007B20: 0A9E9F37
	v_mul_f32_e32 v80, v56, v80                                // 000000007B24: 0AA0A138
	v_mfma_f32_16x16x16_bf16 v[204:207], v[118:119], v[146:147], v[204:207]// 000000007B28: D3E100CC 07332576
	v_mul_f32_e32 v81, v57, v81                                // 000000007B30: 0AA2A339
	v_mul_f32_e32 v82, v58, v82                                // 000000007B34: 0AA4A53A
	v_mul_f32_e32 v83, v59, v83                                // 000000007B38: 0AA6A73B
	v_mfma_f32_16x16x16_bf16 v[208:211], v[120:121], v[146:147], v[208:211]// 000000007B3C: D3E100D0 07432578
	v_cmp_u_f32_e64 s[74:75], v78, v78                         // 000000007B44: D048004A 00029D4E
	v_bfe_u32 v248, v78, 16, 1                                 // 000000007B4C: D1C800F8 0205214E
	v_add3_u32 v248, v78, v248, v251                           // 000000007B54: D1FF00F8 07EFF14E
	v_cndmask_b32_e64 v28, v248, v250, s[74:75]                // 000000007B5C: D100001C 012BF5F8
	v_lshrrev_b32_e32 v28, 16, v28                             // 000000007B64: 20383890
	v_cmp_u_f32_e64 s[74:75], v79, v79                         // 000000007B68: D048004A 00029F4F
	v_bfe_u32 v248, v79, 16, 1                                 // 000000007B70: D1C800F8 0205214F
	v_add3_u32 v248, v79, v248, v251                           // 000000007B78: D1FF00F8 07EFF14F
	v_cndmask_b32_e64 v29, v248, v250, s[74:75]                // 000000007B80: D100001D 012BF5F8
	v_and_or_b32 v75, v29, v249, v28                           // 000000007B88: D201004B 0473F31D
	v_cmp_u_f32_e64 s[74:75], v80, v80                         // 000000007B90: D048004A 0002A150
	v_bfe_u32 v248, v80, 16, 1                                 // 000000007B98: D1C800F8 02052150
	v_add3_u32 v248, v80, v248, v251                           // 000000007BA0: D1FF00F8 07EFF150
	v_cndmask_b32_e64 v28, v248, v250, s[74:75]                // 000000007BA8: D100001C 012BF5F8
	v_lshrrev_b32_e32 v28, 16, v28                             // 000000007BB0: 20383890
	v_cmp_u_f32_e64 s[74:75], v81, v81                         // 000000007BB4: D048004A 0002A351
	v_bfe_u32 v248, v81, 16, 1                                 // 000000007BBC: D1C800F8 02052151
	v_add3_u32 v248, v81, v248, v251                           // 000000007BC4: D1FF00F8 07EFF151
	v_cndmask_b32_e64 v29, v248, v250, s[74:75]                // 000000007BCC: D100001D 012BF5F8
	v_and_or_b32 v76, v29, v249, v28                           // 000000007BD4: D201004C 0473F31D
	v_cmp_u_f32_e64 s[74:75], v82, v82                         // 000000007BDC: D048004A 0002A552
	v_bfe_u32 v248, v82, 16, 1                                 // 000000007BE4: D1C800F8 02052152
	v_add3_u32 v248, v82, v248, v251                           // 000000007BEC: D1FF00F8 07EFF152
	v_cndmask_b32_e64 v28, v248, v250, s[74:75]                // 000000007BF4: D100001C 012BF5F8
	v_lshrrev_b32_e32 v28, 16, v28                             // 000000007BFC: 20383890
	v_cmp_u_f32_e64 s[74:75], v83, v83                         // 000000007C00: D048004A 0002A753
	v_bfe_u32 v248, v83, 16, 1                                 // 000000007C08: D1C800F8 02052153
	v_add3_u32 v248, v83, v248, v251                           // 000000007C10: D1FF00F8 07EFF153
	v_cndmask_b32_e64 v29, v248, v250, s[74:75]                // 000000007C18: D100001D 012BF5F8
	v_and_or_b32 v77, v29, v249, v28                           // 000000007C20: D201004D 0473F31D
	v_mfma_f32_16x16x16_bf16 v[212:215], v[122:123], v[146:147], v[212:215]// 000000007C28: D3E100D4 0753257A
	v_mov_b32_dpp v16, v75 quad_perm:[1,0,3,2] row_mask:0xf bank_mask:0xf// 000000007C30: 7E2002FA FF00B14B
	v_perm_b32 v51, v16, v75, v15                              // 000000007C38: D1ED0033 043E9710
	v_mov_b32_dpp v16, v76 quad_perm:[1,0,3,2] row_mask:0xf bank_mask:0xf// 000000007C40: 7E2002FA FF00B14C
	v_mfma_f32_16x16x16_bf16 v[216:219], v[108:109], v[148:149], v[216:219]// 000000007C48: D3E100D8 0763296C
	v_perm_b32 v52, v16, v76, v15                              // 000000007C50: D1ED0034 043E9910
	v_mov_b32_dpp v16, v77 quad_perm:[1,0,3,2] row_mask:0xf bank_mask:0xf// 000000007C58: 7E2002FA FF00B14D
	v_perm_b32 v53, v16, v77, v15                              // 000000007C60: D1ED0035 043E9B10
	v_mfma_f32_16x16x16_bf16 v[220:223], v[110:111], v[148:149], v[220:223]// 000000007C68: D3E100DC 0773296E
	ds_write_b32 v18, v51 offset:20256                         // 000000007C70: D81A4F20 00003312
	v_mfma_f32_16x16x16_bf16 v[224:227], v[112:113], v[148:149], v[224:227]// 000000007C78: D3E100E0 07832970
	v_mfma_f32_16x16x16_bf16 v[228:231], v[114:115], v[148:149], v[228:231]// 000000007C80: D3E100E4 07932972
	ds_write_b32 v18, v52 offset:22016                         // 000000007C88: D81A5600 00003412
	ds_write_b32 v18, v53 offset:22560                         // 000000007C90: D81A5820 00003512
	v_mfma_f32_16x16x16_bf16 v[232:235], v[116:117], v[148:149], v[232:235]// 000000007C98: D3E100E8 07A32974
	v_mfma_f32_16x16x16_bf16 v[236:239], v[118:119], v[148:149], v[236:239]// 000000007CA0: D3E100EC 07B32976
	ds_write_b32 v13, v84 offset:4352                          // 000000007CA8: D81A1100 0000540D
	ds_write_b32 v13, v85 offset:5408                          // 000000007CB0: D81A1520 0000550D
	v_mfma_f32_16x16x16_bf16 v[240:243], v[120:121], v[148:149], v[240:243]// 000000007CB8: D3E100F0 07C32978
	s_nop 0                                                    // 000000007CC0: BF800000
	s_nop 0                                                    // 000000007CC4: BF800000
	s_nop 0                                                    // 000000007CC8: BF800000
	v_mfma_f32_16x16x16_bf16 v[244:247], v[122:123], v[148:149], v[244:247]// 000000007CCC: D3E100F4 07D3297A
	ds_write_b32 v13, v86 offset:4480                          // 000000007CD4: D81A1180 0000560D
	ds_write_b32 v13, v87 offset:5536                          // 000000007CDC: D81A15A0 0000570D
	s_barrier                                                  // 000000007CE4: BF8A0000
	v_mfma_f32_16x16x16_bf16 a[160:163], a[144:145], v[72:73], a[160:163]// 000000007CE8: D3E180A0 0E829190
	buffer_atomic_add_f32 v136, v7, s[32:35], 0 offen          // 000000007CF0: E1341000 80088807
	v_mfma_f32_16x16x16_bf16 a[164:167], a[146:147], v[72:73], a[164:167]// 000000007CF8: D3E180A4 0E929192
	ds_read_b32 v124, v21 offset:50688                         // 000000007D00: D86CC600 7C000015
	ds_read_b32 v150, v21 offset:50944                         // 000000007D08: D86CC700 96000015
	v_mfma_f32_16x16x16_bf16 a[168:171], a[148:149], v[72:73], a[168:171]// 000000007D10: D3E180A8 0EA29194
	s_waitcnt lgkmcnt(6)                                       // 000000007D18: BF8CC67F
	s_barrier                                                  // 000000007D1C: BF8A0000
	v_mfma_f32_16x16x16_bf16 a[172:175], a[150:151], v[72:73], a[172:175]// 000000007D20: D3E180AC 0EB29196
	ds_read_b128 v[48:51], v17 offset:17408                    // 000000007D28: D9FE4400 30000011
	v_mfma_f32_16x16x16_bf16 a[176:179], a[152:153], v[72:73], a[176:179]// 000000007D30: D3E180B0 0EC29198
	v_mfma_f32_16x16x16_bf16 a[180:183], a[154:155], v[72:73], a[180:183]// 000000007D38: D3E180B4 0ED2919A
	ds_read_b128 v[52:55], v17 offset:18560                    // 000000007D40: D9FE4880 34000011
	v_mfma_f32_16x16x16_bf16 a[184:187], a[156:157], v[72:73], a[184:187]// 000000007D48: D3E180B8 0EE2919C
	buffer_atomic_add_f32 v137, v8, s[32:35], 0 offen          // 000000007D50: E1341000 80088908
	v_mfma_f32_16x16x16_bf16 a[188:191], a[158:159], v[72:73], a[188:191]// 000000007D58: D3E180BC 0EF2919E
	ds_read_b128 v[56:59], v17 offset:19712                    // 000000007D60: D9FE4D00 38000011
	v_mfma_f32_16x16x16_bf16 a[192:195], a[144:145], v[74:75], a[192:195]// 000000007D68: D3E180C0 0F029590
	v_mfma_f32_16x16x16_bf16 a[196:199], a[146:147], v[74:75], a[196:199]// 000000007D70: D3E180C4 0F129592
	ds_read_b128 v[60:63], v17 offset:20864                    // 000000007D78: D9FE5180 3C000011
	v_mfma_f32_16x16x16_bf16 a[200:203], a[148:149], v[74:75], a[200:203]// 000000007D80: D3E180C8 0F229594
	v_mfma_f32_16x16x16_bf16 a[204:207], a[150:151], v[74:75], a[204:207]// 000000007D88: D3E180CC 0F329596
	ds_read_b128 v[64:67], v17 offset:22016                    // 000000007D90: D9FE5600 40000011
	v_mfma_f32_16x16x16_bf16 a[208:211], a[152:153], v[74:75], a[208:211]// 000000007D98: D3E180D0 0F429598
	buffer_atomic_add_f32 v138, v7, s[32:35], 0 offen offset:128// 000000007DA0: E1341080 80088A07
	v_mfma_f32_16x16x16_bf16 a[212:215], a[154:155], v[74:75], a[212:215]// 000000007DA8: D3E180D4 0F52959A
	ds_read_b128 v[68:71], v17 offset:23168                    // 000000007DB0: D9FE5A80 44000011
	v_mfma_f32_16x16x16_bf16 a[216:219], a[156:157], v[74:75], a[216:219]// 000000007DB8: D3E180D8 0F62959C
	v_mfma_f32_16x16x16_bf16 a[220:223], a[158:159], v[74:75], a[220:223]// 000000007DC0: D3E180DC 0F72959E
	ds_write_b32 v13, v88 offset:13056                         // 000000007DC8: D81A3300 0000580D
	v_mfma_f32_16x16x16_bf16 a[224:227], a[144:145], v[76:77], a[224:227]// 000000007DD0: D3E180E0 0F829990
	v_mfma_f32_16x16x16_bf16 a[228:231], a[146:147], v[76:77], a[228:231]// 000000007DD8: D3E180E4 0F929992
	ds_write_b32 v13, v89 offset:14112                         // 000000007DE0: D81A3720 0000590D
	v_mfma_f32_16x16x16_bf16 a[232:235], a[148:149], v[76:77], a[232:235]// 000000007DE8: D3E180E8 0FA29994
	buffer_atomic_add_f32 v139, v8, s[32:35], 0 offen offset:128// 000000007DF0: E1341080 80088B08
	v_mfma_f32_16x16x16_bf16 a[236:239], a[150:151], v[76:77], a[236:239]// 000000007DF8: D3E180EC 0FB29996
	ds_write_b32 v13, v90 offset:13184                         // 000000007E00: D81A3380 00005A0D
	v_mfma_f32_16x16x16_bf16 a[240:243], a[152:153], v[76:77], a[240:243]// 000000007E08: D3E180F0 0FC29998
	v_mfma_f32_16x16x16_bf16 a[244:247], a[154:155], v[76:77], a[244:247]// 000000007E10: D3E180F4 0FD2999A
	ds_write_b32 v13, v91 offset:14240                         // 000000007E18: D81A37A0 00005B0D
	v_mfma_f32_16x16x16_bf16 a[248:251], a[156:157], v[76:77], a[248:251]// 000000007E20: D3E180F8 0FE2999C
	v_mfma_f32_16x16x16_bf16 a[252:255], a[158:159], v[76:77], a[252:255]// 000000007E28: D3E180FC 0FF2999E
	s_waitcnt vmcnt(8) lgkmcnt(4)                              // 000000007E30: BF8C0478
	s_barrier                                                  // 000000007E34: BF8A0000
	v_mfma_f32_16x16x16_bf16 v[128:131], v[48:49], a[48:49], 0 // 000000007E38: D3E10080 12026130
	v_mul_f32_e32 v124, s48, v124                              // 000000007E40: 0AF8F830
	s_nop 0                                                    // 000000007E44: BF800000
	v_mfma_f32_16x16x16_bf16 v[128:131], v[50:51], a[52:53], v[128:131]// 000000007E48: D3E10080 16026932
	ds_read_b128 a[144:147], v10                               // 000000007E50: DBFE0000 9000000A
	v_mov_b32_e32 v32, 0                                       // 000000007E58: 7E400280
	s_mov_b64 exec, s[88:89]                                   // 000000007E5C: BEFE0158
	buffer_load_dword v32, v1, s[8:11], 0 idxen                // 000000007E60: E0502000 80022001
	s_mov_b64 exec, s[86:87]                                   // 000000007E68: BEFE0156
	v_mfma_f32_16x16x16_bf16 v[128:131], v[52:53], a[56:57], v[128:131]// 000000007E6C: D3E10080 16027134
	v_mfma_f32_16x16x16_bf16 v[128:131], v[54:55], a[60:61], v[128:131]// 000000007E74: D3E10080 16027936
	ds_read_b128 a[148:151], v10 offset:512                    // 000000007E7C: DBFE0200 9400000A
	v_mov_b32_e32 v33, 0                                       // 000000007E84: 7E420280
	s_mov_b64 exec, s[88:89]                                   // 000000007E88: BEFE0158
	buffer_load_dword v33, v2, s[8:11], 0 idxen                // 000000007E8C: E0502000 80022102
	s_mov_b64 exec, s[86:87]                                   // 000000007E94: BEFE0156
	v_mfma_f32_16x16x16_bf16 v[128:131], v[56:57], a[64:65], v[128:131]// 000000007E98: D3E10080 16028138
	v_perm_b32 v84, v37, v36, s63                              // 000000007EA0: D1ED0054 00FE4925
	v_perm_b32 v85, v37, v36, s64                              // 000000007EA8: D1ED0055 01024925
	v_mfma_f32_16x16x16_bf16 v[128:131], v[58:59], a[68:69], v[128:131]// 000000007EB0: D3E10080 1602893A
	ds_read_b128 a[152:155], v10 offset:2176                   // 000000007EB8: DBFE0880 9800000A
	v_mov_b32_e32 v34, 0                                       // 000000007EC0: 7E440280
	s_mov_b64 exec, s[88:89]                                   // 000000007EC4: BEFE0158
	buffer_load_dword v34, v3, s[8:11], 0 idxen                // 000000007EC8: E0502000 80022203
	s_mov_b64 exec, s[86:87]                                   // 000000007ED0: BEFE0156
	v_mfma_f32_16x16x16_bf16 v[128:131], v[60:61], a[72:73], v[128:131]// 000000007ED4: D3E10080 1602913C
	v_perm_b32 v86, v39, v38, s63                              // 000000007EDC: D1ED0056 00FE4D27
	v_perm_b32 v87, v39, v38, s64                              // 000000007EE4: D1ED0057 01024D27
	v_mfma_f32_16x16x16_bf16 v[128:131], v[62:63], a[76:77], v[128:131]// 000000007EEC: D3E10080 1602993E
	ds_read_b128 a[156:159], v10 offset:2688                   // 000000007EF4: DBFE0A80 9C00000A
	v_mov_b32_e32 v35, 0                                       // 000000007EFC: 7E460280
	s_mov_b64 exec, s[88:89]                                   // 000000007F00: BEFE0158
	buffer_load_dword v35, v4, s[8:11], 0 idxen                // 000000007F04: E0502000 80022304
	s_mov_b64 exec, s[86:87]                                   // 000000007F0C: BEFE0156
	v_mfma_f32_16x16x16_bf16 v[128:131], v[64:65], a[80:81], v[128:131]// 000000007F10: D3E10080 1602A140
	v_perm_b32 v88, v45, v44, s63                              // 000000007F18: D1ED0058 00FE592D
	v_perm_b32 v89, v45, v44, s64                              // 000000007F20: D1ED0059 0102592D
	v_mfma_f32_16x16x16_bf16 v[128:131], v[66:67], a[84:85], v[128:131]// 000000007F28: D3E10080 1602A942
	ds_read_b128 v[92:95], v10 offset:8704                     // 000000007F30: D9FE2200 5C00000A
	v_mov_b32_e32 v40, 0                                       // 000000007F38: 7E500280
	s_mov_b64 exec, s[88:89]                                   // 000000007F3C: BEFE0158
	buffer_load_dword v40, v252, s[20:23], 0 idxen             // 000000007F40: E0502000 800528FC
	s_mov_b64 exec, s[86:87]                                   // 000000007F48: BEFE0156
	v_mfma_f32_16x16x16_bf16 v[128:131], v[68:69], a[88:89], v[128:131]// 000000007F4C: D3E10080 1602B144
	v_perm_b32 v90, v47, v46, s63                              // 000000007F54: D1ED005A 00FE5D2F
	v_perm_b32 v91, v47, v46, s64                              // 000000007F5C: D1ED005B 01025D2F
	v_mfma_f32_16x16x16_bf16 v[128:131], v[70:71], a[92:93], v[128:131]// 000000007F64: D3E10080 1602B946
	ds_read_b128 v[96:99], v10 offset:9216                     // 000000007F6C: D9FE2400 6000000A
	v_mov_b32_e32 v41, 0                                       // 000000007F74: 7E520280
	s_mov_b64 exec, s[88:89]                                   // 000000007F78: BEFE0158
	buffer_load_dword v41, v253, s[20:23], 0 idxen             // 000000007F7C: E0502000 800529FD
	s_mov_b64 exec, s[86:87]                                   // 000000007F84: BEFE0156
	v_mfma_f32_16x16x16_bf16 v[132:135], v[48:49], a[50:51], 0 // 000000007F88: D3E10084 12026530
	v_mov_b32_dpp v127, v124 quad_perm:[3,3,3,3] row_mask:0xf bank_mask:0xf// 000000007F90: 7EFE02FA FF00FF7C
	v_mov_b32_dpp v126, v124 quad_perm:[2,2,2,2] row_mask:0xf bank_mask:0xf// 000000007F98: 7EFC02FA FF00AA7C
	v_mfma_f32_16x16x16_bf16 v[132:135], v[50:51], a[54:55], v[132:135]// 000000007FA0: D3E10084 16126D32
	ds_read_b128 v[100:103], v10 offset:10880                  // 000000007FA8: D9FE2A80 6400000A
	v_mov_b32_e32 v42, 0                                       // 000000007FB0: 7E540280
	s_mov_b64 exec, s[88:89]                                   // 000000007FB4: BEFE0158
	buffer_load_dword v42, v254, s[20:23], 0 idxen             // 000000007FB8: E0502000 80052AFE
	s_mov_b64 exec, s[86:87]                                   // 000000007FC0: BEFE0156
	v_mfma_f32_16x16x16_bf16 v[132:135], v[52:53], a[58:59], v[132:135]// 000000007FC4: D3E10084 16127534
	v_mov_b32_dpp v125, v124 quad_perm:[1,1,1,1] row_mask:0xf bank_mask:0xf// 000000007FCC: 7EFA02FA FF00557C
	v_mov_b32_dpp v124, v124 quad_perm:[0,0,0,0] row_mask:0xf bank_mask:0xf// 000000007FD4: 7EF802FA FF00007C
	s_add_u32 s60, 64, s59                                     // 000000007FDC: 803C3BC0
	v_mfma_f32_16x16x16_bf16 v[132:135], v[54:55], a[62:63], v[132:135]// 000000007FE0: D3E10084 16127D36
	ds_read_b128 v[104:107], v10 offset:11392                  // 000000007FE8: D9FE2C80 6800000A
	v_mov_b32_e32 v43, 0                                       // 000000007FF0: 7E560280
	s_mov_b64 exec, s[88:89]                                   // 000000007FF4: BEFE0158
	buffer_load_dword v43, v255, s[20:23], 0 idxen             // 000000007FF8: E0502000 80052BFF
	s_mov_b64 exec, s[86:87]                                   // 000000008000: BEFE0156
	v_mfma_f32_16x16x16_bf16 v[132:135], v[56:57], a[66:67], v[132:135]// 000000008004: D3E10084 16128538
	s_cmp_lt_u32 s60, s58                                      // 00000000800C: BF0A3A3C
	s_cselect_b32 s68, s68, 0                                  // 000000008010: 85448044
	s_cselect_b32 s97, s97, 0                                  // 000000008014: 85618061
	;; [unrolled: 1-line block ×3, first 2 shown]
	v_mfma_f32_16x16x16_bf16 v[132:135], v[58:59], a[70:71], v[132:135]// 00000000801C: D3E10084 16128D3A
	buffer_load_dword v9, s[24:27], 0 idxen lds                // 000000008024: E0512000 80060009
	v_mfma_f32_16x16x16_bf16 v[132:135], v[60:61], a[74:75], v[132:135]// 00000000802C: D3E10084 1612953C
	v_add_u32_e32 v1, s68, v1                                  // 000000008034: 68020244
	v_add_u32_e32 v2, s68, v2                                  // 000000008038: 68040444
	v_add_u32_e32 v3, s68, v3                                  // 00000000803C: 68060644
	v_add_u32_e32 v4, s68, v4                                  // 000000008040: 68080844
	v_mfma_f32_16x16x16_bf16 v[132:135], v[62:63], a[78:79], v[132:135]// 000000008044: D3E10084 16129D3E
	v_add_u32_e32 v252, s97, v252                              // 00000000804C: 69F9F861
	v_add_u32_e32 v253, s97, v253                              // 000000008050: 69FBFA61
	v_add_u32_e32 v254, s97, v254                              // 000000008054: 69FDFC61
	v_add_u32_e32 v255, s97, v255                              // 000000008058: 69FFFE61
	v_mfma_f32_16x16x16_bf16 v[132:135], v[64:65], a[82:83], v[132:135]// 00000000805C: D3E10084 1612A540
	s_mov_b32 m0, s77                                          // 000000008064: BEFC004D
	v_add_u32_e32 v9, s69, v9                                  // 000000008068: 68121245
	v_mfma_f32_16x16x16_bf16 v[132:135], v[66:67], a[86:87], v[132:135]// 00000000806C: D3E10084 1612AD42
	s_cmp_ge_u32 s59, 16                                       // 000000008074: BF09903B
	s_cselect_b32 s66, s67, s66                                // 000000008078: 85424243
	v_mfma_f32_16x16x16_bf16 v[132:135], v[68:69], a[90:91], v[132:135]// 00000000807C: D3E10084 1612B544
	s_addk_i32 s59, 0x10                                       // 000000008084: B73B0010
	s_nop 0                                                    // 000000008088: BF800000
	s_cmp_lt_i32 s59, s58                                      // 00000000808C: BF043A3B
	v_mfma_f32_16x16x16_bf16 v[132:135], v[70:71], a[94:95], v[132:135]// 000000008090: D3E10084 1612BD46
	s_cbranch_scc0 label_10B2                                  // 000000008098: BF840001
	s_branch label_09C5                                        // 00000000809C: BF82F91D

00000000000080a0 <label_10B2>:
	s_nop 0                                                    // 0000000080A0: BF800000
	s_nop 0                                                    // 0000000080A4: BF800000
	s_branch label_17A2                                        // 0000000080A8: BF8206E3

00000000000080ac <label_10B5>:
	s_waitcnt lgkmcnt(0)                                       // 0000000080AC: BF8CC07F
	s_barrier                                                  // 0000000080B0: BF8A0000
	v_mfma_f32_16x16x16_bf16 v[48:51], a[144:145], a[0:1], 0   // 0000000080B4: D3E10030 1A020190
	v_mul_f32_e32 v128, s47, v128                              // 0000000080BC: 0B01002F
	v_mul_f32_e32 v129, s47, v129                              // 0000000080C0: 0B03022F
	v_mfma_f32_16x16x16_bf16 v[48:51], a[146:147], a[2:3], v[48:51]// 0000000080C4: D3E10030 1CC20592
	ds_write_b32 v11, v44 offset:8704                          // 0000000080CC: D81A2200 00002C0B
	ds_write_b32 v11, v45 offset:9760                          // 0000000080D4: D81A2620 00002D0B
	v_mfma_f32_16x16x16_bf16 v[48:51], a[148:149], a[4:5], v[48:51]// 0000000080DC: D3E10030 1CC20994
	v_mul_f32_e32 v130, s47, v130                              // 0000000080E4: 0B05042F
	v_mul_f32_e32 v131, s47, v131                              // 0000000080E8: 0B07062F
	v_mfma_f32_16x16x16_bf16 v[48:51], a[150:151], a[6:7], v[48:51]// 0000000080EC: D3E10030 1CC20D96
	ds_write_b32 v11, v46 offset:8832                          // 0000000080F4: D81A2280 00002E0B
	ds_write_b32 v11, v47 offset:9888                          // 0000000080FC: D81A26A0 00002F0B
	v_mfma_f32_16x16x16_bf16 v[48:51], a[152:153], a[8:9], v[48:51]// 000000008104: D3E10030 1CC21198
	v_mul_f32_e32 v132, s47, v132                              // 00000000810C: 0B09082F
	v_mul_f32_e32 v133, s47, v133                              // 000000008110: 0B0B0A2F
	v_mfma_f32_16x16x16_bf16 v[48:51], a[154:155], a[10:11], v[48:51]// 000000008114: D3E10030 1CC2159A
	ds_write_b64 v20, v[128:129] offset:24320                  // 00000000811C: D89A5F00 00008014
	v_mfma_f32_16x16x16_bf16 v[48:51], a[156:157], a[12:13], v[48:51]// 000000008124: D3E10030 1CC2199C
	v_mul_f32_e32 v134, s47, v134                              // 00000000812C: 0B0D0C2F
	v_mul_f32_e32 v135, s47, v135                              // 000000008130: 0B0F0E2F
	v_mfma_f32_16x16x16_bf16 v[48:51], a[158:159], a[14:15], v[48:51]// 000000008134: D3E10030 1CC21D9E
	ds_write_b64 v20, v[130:131] offset:24832                  // 00000000813C: D89A6100 00008214
	v_mfma_f32_16x16x16_bf16 v[52:55], a[144:145], a[16:17], 0 // 000000008144: D3E10034 1A022190
	buffer_atomic_add_f32 v140, v7, s[32:35], 0 offen offset:256// 00000000814C: E1341100 80088C07
	v_mfma_f32_16x16x16_bf16 v[52:55], a[146:147], a[18:19], v[52:55]// 000000008154: D3E10034 1CD22592
	ds_write_b64 v20, v[132:133] offset:25344                  // 00000000815C: D89A6300 00008414
	v_mfma_f32_16x16x16_bf16 v[52:55], a[148:149], a[20:21], v[52:55]// 000000008164: D3E10034 1CD22994
	v_mfma_f32_16x16x16_bf16 v[52:55], a[150:151], a[22:23], v[52:55]// 00000000816C: D3E10034 1CD22D96
	ds_write_b64 v20, v[134:135] offset:25856                  // 000000008174: D89A6500 00008614
	v_mfma_f32_16x16x16_bf16 v[52:55], a[152:153], a[24:25], v[52:55]// 00000000817C: D3E10034 1CD23198
	buffer_atomic_add_f32 v141, v8, s[32:35], 0 offen offset:256// 000000008184: E1341100 80088D08
	v_mfma_f32_16x16x16_bf16 v[52:55], a[154:155], a[26:27], v[52:55]// 00000000818C: D3E10034 1CD2359A
	ds_read_b128 v[108:111], v12 offset:13056                  // 000000008194: D9FE3300 6C00000C
	ds_write_b32 v11, v36                                      // 00000000819C: D81A0000 0000240B
	v_mfma_f32_16x16x16_bf16 v[52:55], a[156:157], a[28:29], v[52:55]// 0000000081A4: D3E10034 1CD2399C
	v_mfma_f32_16x16x16_bf16 v[52:55], a[158:159], a[30:31], v[52:55]// 0000000081AC: D3E10034 1CD23D9E
	v_mfma_f32_16x16x16_bf16 v[56:59], a[144:145], a[32:33], 0 // 0000000081B4: D3E10038 1A024190
	ds_read_b128 v[112:115], v12 offset:13568                  // 0000000081BC: D9FE3500 7000000C
	ds_write_b32 v11, v37 offset:1056                          // 0000000081C4: D81A0420 0000250B
	v_mfma_f32_16x16x16_bf16 v[56:59], a[146:147], a[34:35], v[56:59]// 0000000081CC: D3E10038 1CE24592
	buffer_atomic_add_f32 v142, v7, s[32:35], 0 offen offset:384// 0000000081D4: E1341180 80088E07
	v_mfma_f32_16x16x16_bf16 v[56:59], a[148:149], a[36:37], v[56:59]// 0000000081DC: D3E10038 1CE24994
	v_mfma_f32_16x16x16_bf16 v[56:59], a[150:151], a[38:39], v[56:59]// 0000000081E4: D3E10038 1CE24D96
	ds_read_b128 v[116:119], v12 offset:15232                  // 0000000081EC: D9FE3B80 7400000C
	ds_write_b32 v11, v38 offset:128                           // 0000000081F4: D81A0080 0000260B
	v_mfma_f32_16x16x16_bf16 v[56:59], a[152:153], a[40:41], v[56:59]// 0000000081FC: D3E10038 1CE25198
	v_mfma_f32_16x16x16_bf16 v[56:59], a[154:155], a[42:43], v[56:59]// 000000008204: D3E10038 1CE2559A
	buffer_atomic_add_f32 v143, v8, s[32:35], 0 offen offset:384// 00000000820C: E1341180 80088F08
	v_mfma_f32_16x16x16_bf16 v[56:59], a[156:157], a[44:45], v[56:59]// 000000008214: D3E10038 1CE2599C
	ds_read_b128 v[120:123], v12 offset:15744                  // 00000000821C: D9FE3D80 7800000C
	ds_write_b32 v11, v39 offset:1184                          // 000000008224: D81A04A0 0000270B
	v_mfma_f32_16x16x16_bf16 v[56:59], a[158:159], a[46:47], v[56:59]// 00000000822C: D3E10038 1CE25D9E
	s_cmp_lt_i32 s99, 0xc0                                     // 000000008234: BF04FF63 000000C0
	s_cbranch_scc0 label_116C                                  // 00000000823C: BF84004D
	s_cmp_le_i32 s99, 64                                       // 000000008240: BF05C063
	s_cbranch_scc1 label_1123                                  // 000000008244: BF850007
	s_cmp_le_i32 s99, 0x80                                     // 000000008248: BF05FF63 00000080
	s_cbranch_scc1 label_113B                                  // 000000008250: BF850017
	s_cmp_lt_i32 s99, 0xc0                                     // 000000008254: BF04FF63 000000C0
	s_cbranch_scc1 label_1153                                  // 00000000825C: BF85002C
	s_branch label_116C                                        // 000000008260: BF820044

0000000000008264 <label_1123>:
	s_mov_b32 s60, 0                                           // 000000008264: BEBC0080
	v_and_b32_e32 v28, 15, v0                                  // 000000008268: 2638008F
	v_add_u32_e64 v28, v28, s60                                // 00000000826C: D134001C 0000791C
	v_mul_i32_i24_e64 v29, s46, 16                             // 000000008274: D106001D 0001202E
	v_add_u32_e32 v28, v28, v29                                // 00000000827C: 68383B1C
	v_cmp_lt_u32_e64 s[60:61], v28, s99                        // 000000008280: D0C9003C 0000C71C
	s_nop 1                                                    // 000000008288: BF800001
	v_cndmask_b32_e64 v48, v151, v48, s[60:61]                 // 00000000828C: D1000030 00F26197
	v_cndmask_b32_e64 v49, v151, v49, s[60:61]                 // 000000008294: D1000031 00F26397
	v_cndmask_b32_e64 v50, v151, v50, s[60:61]                 // 00000000829C: D1000032 00F26597
	v_cndmask_b32_e64 v51, v151, v51, s[60:61]                 // 0000000082A4: D1000033 00F26797
	s_branch label_114E                                        // 0000000082AC: BF820013

00000000000082b0 <label_113B>:
	s_mov_b32 s60, 64                                          // 0000000082B0: BEBC00C0
	v_and_b32_e32 v28, 15, v0                                  // 0000000082B4: 2638008F
	v_add_u32_e64 v28, v28, s60                                // 0000000082B8: D134001C 0000791C
	v_mul_i32_i24_e64 v29, s46, 16                             // 0000000082C0: D106001D 0001202E
	v_add_u32_e32 v28, v28, v29                                // 0000000082C8: 68383B1C
	v_cmp_lt_u32_e64 s[60:61], v28, s99                        // 0000000082CC: D0C9003C 0000C71C
	s_nop 1                                                    // 0000000082D4: BF800001
	v_cndmask_b32_e64 v52, v151, v52, s[60:61]                 // 0000000082D8: D1000034 00F26997
	v_cndmask_b32_e64 v53, v151, v53, s[60:61]                 // 0000000082E0: D1000035 00F26B97
	v_cndmask_b32_e64 v54, v151, v54, s[60:61]                 // 0000000082E8: D1000036 00F26D97
	v_cndmask_b32_e64 v55, v151, v55, s[60:61]                 // 0000000082F0: D1000037 00F26F97
	s_branch label_1167                                        // 0000000082F8: BF820019

00000000000082fc <label_114E>:
	v_mov_b32_e32 v52, v151                                    // 0000000082FC: 7E680397
	v_mov_b32_e32 v53, v151                                    // 000000008300: 7E6A0397
	v_mov_b32_e32 v54, v151                                    // 000000008304: 7E6C0397
	v_mov_b32_e32 v55, v151                                    // 000000008308: 7E6E0397
	s_branch label_1167                                        // 00000000830C: BF820014

0000000000008310 <label_1153>:
	s_mov_b32 s60, 0x80                                        // 000000008310: BEBC00FF 00000080
	v_and_b32_e32 v28, 15, v0                                  // 000000008318: 2638008F
	v_add_u32_e64 v28, v28, s60                                // 00000000831C: D134001C 0000791C
	v_mul_i32_i24_e64 v29, s46, 16                             // 000000008324: D106001D 0001202E
	v_add_u32_e32 v28, v28, v29                                // 00000000832C: 68383B1C
	v_cmp_lt_u32_e64 s[60:61], v28, s99                        // 000000008330: D0C9003C 0000C71C
	s_nop 1                                                    // 000000008338: BF800001
	v_cndmask_b32_e64 v56, v151, v56, s[60:61]                 // 00000000833C: D1000038 00F27197
	v_cndmask_b32_e64 v57, v151, v57, s[60:61]                 // 000000008344: D1000039 00F27397
	v_cndmask_b32_e64 v58, v151, v58, s[60:61]                 // 00000000834C: D100003A 00F27597
	v_cndmask_b32_e64 v59, v151, v59, s[60:61]                 // 000000008354: D100003B 00F27797
	s_branch label_116C                                        // 00000000835C: BF820005

0000000000008360 <label_1167>:
	v_mov_b32_e32 v56, v151                                    // 000000008360: 7E700397
	v_mov_b32_e32 v57, v151                                    // 000000008364: 7E720397
	v_mov_b32_e32 v58, v151                                    // 000000008368: 7E740397
	v_mov_b32_e32 v59, v151                                    // 00000000836C: 7E760397
	s_branch label_116C                                        // 000000008370: BF820000

0000000000008374 <label_116C>:
	s_waitcnt lgkmcnt(8)                                       // 000000008374: BF8CC87F
	s_barrier                                                  // 000000008378: BF8A0000
	v_mfma_f32_16x16x16_bf16 v[72:75], v[92:93], a[96:97], 0   // 00000000837C: D3E10048 1202C15C
	v_fma_f32 v48, v48, s57, -v124                             // 000000008384: D1CB0030 85F07330
	v_fma_f32 v49, v49, s57, -v125                             // 00000000838C: D1CB0031 85F47331
	v_fma_f32 v50, v50, s57, -v126                             // 000000008394: D1CB0032 85F87332
	v_mfma_f32_16x16x16_bf16 v[72:75], v[94:95], a[98:99], v[72:75]// 00000000839C: D3E10048 1522C55E
	ds_read_b128 a[144:147], v12 offset:4352                   // 0000000083A4: DBFE1100 9000000C
	ds_read_b128 a[148:151], v12 offset:4864                   // 0000000083AC: DBFE1300 9400000C
	v_mfma_f32_16x16x16_bf16 v[72:75], v[96:97], a[100:101], v[72:75]// 0000000083B4: D3E10048 1522C960
	v_fma_f32 v51, v51, s57, -v127                             // 0000000083BC: D1CB0033 85FC7333
	v_fma_f32 v52, v52, s57, -v124                             // 0000000083C4: D1CB0034 85F07334
	v_fma_f32 v53, v53, s57, -v125                             // 0000000083CC: D1CB0035 85F47335
	v_mfma_f32_16x16x16_bf16 v[72:75], v[98:99], a[102:103], v[72:75]// 0000000083D4: D3E10048 1522CD62
	v_fma_f32 v54, v54, s57, -v126                             // 0000000083DC: D1CB0036 85F87336
	v_fma_f32 v55, v55, s57, -v127                             // 0000000083E4: D1CB0037 85FC7337
	v_fma_f32 v56, v56, s57, -v124                             // 0000000083EC: D1CB0038 85F07338
	v_mfma_f32_16x16x16_bf16 v[72:75], v[100:101], a[104:105], v[72:75]// 0000000083F4: D3E10048 1522D164
	v_fma_f32 v57, v57, s57, -v125                             // 0000000083FC: D1CB0039 85F47339
	v_fma_f32 v58, v58, s57, -v126                             // 000000008404: D1CB003A 85F8733A
	v_fma_f32 v59, v59, s57, -v127                             // 00000000840C: D1CB003B 85FC733B
	v_mfma_f32_16x16x16_bf16 v[72:75], v[102:103], a[106:107], v[72:75]// 000000008414: D3E10048 1522D566
	ds_read_b128 a[152:155], v12 offset:6528                   // 00000000841C: DBFE1980 9800000C
	ds_read_b128 a[156:159], v12 offset:7040                   // 000000008424: DBFE1B80 9C00000C
	v_mfma_f32_16x16x16_bf16 v[72:75], v[104:105], a[108:109], v[72:75]// 00000000842C: D3E10048 1522D968
	v_exp_f32_e32 v48, v48                                     // 000000008434: 7E604130
	v_mfma_f32_16x16x16_bf16 v[72:75], v[106:107], a[110:111], v[72:75]// 000000008438: D3E10048 1522DD6A
	v_exp_f32_e32 v49, v49                                     // 000000008440: 7E624131
	v_mfma_f32_16x16x16_bf16 v[76:79], v[92:93], a[112:113], 0 // 000000008444: D3E1004C 1202E15C
	v_exp_f32_e32 v50, v50                                     // 00000000844C: 7E644132
	v_mfma_f32_16x16x16_bf16 v[76:79], v[94:95], a[114:115], v[76:79]// 000000008450: D3E1004C 1532E55E
	ds_read_b64 v[136:137], v19 offset:24320                   // 000000008458: D8EC5F00 88000013
	ds_read_b64 v[138:139], v19 offset:26368                   // 000000008460: D8EC6700 8A000013
	v_mfma_f32_16x16x16_bf16 v[76:79], v[96:97], a[116:117], v[76:79]// 000000008468: D3E1004C 1532E960
	v_exp_f32_e32 v51, v51                                     // 000000008470: 7E664133
	v_mfma_f32_16x16x16_bf16 v[76:79], v[98:99], a[118:119], v[76:79]// 000000008474: D3E1004C 1532ED62
	ds_read_b64 v[140:141], v19 offset:28416                   // 00000000847C: D8EC6F00 8C000013
	ds_read_b64 v[142:143], v19 offset:30464                   // 000000008484: D8EC7700 8E000013
	v_mfma_f32_16x16x16_bf16 v[76:79], v[100:101], a[120:121], v[76:79]// 00000000848C: D3E1004C 1532F164
	v_exp_f32_e32 v52, v52                                     // 000000008494: 7E684134
	v_mfma_f32_16x16x16_bf16 v[76:79], v[102:103], a[122:123], v[76:79]// 000000008498: D3E1004C 1532F566
	v_exp_f32_e32 v53, v53                                     // 0000000084A0: 7E6A4135
	v_mfma_f32_16x16x16_bf16 v[76:79], v[104:105], a[124:125], v[76:79]// 0000000084A4: D3E1004C 1532F968
	v_exp_f32_e32 v54, v54                                     // 0000000084AC: 7E6C4136
	v_mfma_f32_16x16x16_bf16 v[76:79], v[106:107], a[126:127], v[76:79]// 0000000084B0: D3E1004C 1532FD6A
	v_exp_f32_e32 v55, v55                                     // 0000000084B8: 7E6E4137
	v_mfma_f32_16x16x16_bf16 v[80:83], v[92:93], a[128:129], 0 // 0000000084BC: D3E10050 1203015C
	v_exp_f32_e32 v56, v56                                     // 0000000084C4: 7E704138
	v_mfma_f32_16x16x16_bf16 v[80:83], v[94:95], a[130:131], v[80:83]// 0000000084C8: D3E10050 1543055E
	v_exp_f32_e32 v57, v57                                     // 0000000084D0: 7E724139
	v_mfma_f32_16x16x16_bf16 v[80:83], v[96:97], a[132:133], v[80:83]// 0000000084D4: D3E10050 15430960
	v_exp_f32_e32 v58, v58                                     // 0000000084DC: 7E74413A
	v_mfma_f32_16x16x16_bf16 v[80:83], v[98:99], a[134:135], v[80:83]// 0000000084E0: D3E10050 15430D62
	v_exp_f32_e32 v59, v59                                     // 0000000084E8: 7E76413B
	v_mfma_f32_16x16x16_bf16 v[80:83], v[100:101], a[136:137], v[80:83]// 0000000084EC: D3E10050 15431164
	v_cmp_u_f32_e64 s[74:75], v48, v48                         // 0000000084F4: D048004A 00026130
	v_bfe_u32 v248, v48, 16, 1                                 // 0000000084FC: D1C800F8 02052130
	v_add3_u32 v248, v48, v248, v251                           // 000000008504: D1FF00F8 07EFF130
	v_cndmask_b32_e64 v28, v248, v250, s[74:75]                // 00000000850C: D100001C 012BF5F8
	v_lshrrev_b32_e32 v28, 16, v28                             // 000000008514: 20383890
	v_cmp_u_f32_e64 s[74:75], v49, v49                         // 000000008518: D048004A 00026331
	v_bfe_u32 v248, v49, 16, 1                                 // 000000008520: D1C800F8 02052131
	v_add3_u32 v248, v49, v248, v251                           // 000000008528: D1FF00F8 07EFF131
	v_cndmask_b32_e64 v29, v248, v250, s[74:75]                // 000000008530: D100001D 012BF5F8
	v_and_or_b32 v144, v29, v249, v28                          // 000000008538: D2010090 0473F31D
	v_cmp_u_f32_e64 s[74:75], v50, v50                         // 000000008540: D048004A 00026532
	v_bfe_u32 v248, v50, 16, 1                                 // 000000008548: D1C800F8 02052132
	v_add3_u32 v248, v50, v248, v251                           // 000000008550: D1FF00F8 07EFF132
	v_cndmask_b32_e64 v28, v248, v250, s[74:75]                // 000000008558: D100001C 012BF5F8
	v_lshrrev_b32_e32 v28, 16, v28                             // 000000008560: 20383890
	v_cmp_u_f32_e64 s[74:75], v51, v51                         // 000000008564: D048004A 00026733
	v_bfe_u32 v248, v51, 16, 1                                 // 00000000856C: D1C800F8 02052133
	v_add3_u32 v248, v51, v248, v251                           // 000000008574: D1FF00F8 07EFF133
	v_cndmask_b32_e64 v29, v248, v250, s[74:75]                // 00000000857C: D100001D 012BF5F8
	v_and_or_b32 v145, v29, v249, v28                          // 000000008584: D2010091 0473F31D
	v_cmp_u_f32_e64 s[74:75], v52, v52                         // 00000000858C: D048004A 00026934
	v_bfe_u32 v248, v52, 16, 1                                 // 000000008594: D1C800F8 02052134
	v_add3_u32 v248, v52, v248, v251                           // 00000000859C: D1FF00F8 07EFF134
	v_cndmask_b32_e64 v28, v248, v250, s[74:75]                // 0000000085A4: D100001C 012BF5F8
	v_lshrrev_b32_e32 v28, 16, v28                             // 0000000085AC: 20383890
	v_cmp_u_f32_e64 s[74:75], v53, v53                         // 0000000085B0: D048004A 00026B35
	v_bfe_u32 v248, v53, 16, 1                                 // 0000000085B8: D1C800F8 02052135
	v_add3_u32 v248, v53, v248, v251                           // 0000000085C0: D1FF00F8 07EFF135
	v_cndmask_b32_e64 v29, v248, v250, s[74:75]                // 0000000085C8: D100001D 012BF5F8
	v_and_or_b32 v146, v29, v249, v28                          // 0000000085D0: D2010092 0473F31D
	v_mfma_f32_16x16x16_bf16 v[80:83], v[102:103], a[138:139], v[80:83]// 0000000085D8: D3E10050 15431566
	v_cmp_u_f32_e64 s[74:75], v54, v54                         // 0000000085E0: D048004A 00026D36
	v_bfe_u32 v248, v54, 16, 1                                 // 0000000085E8: D1C800F8 02052136
	v_add3_u32 v248, v54, v248, v251                           // 0000000085F0: D1FF00F8 07EFF136
	v_cndmask_b32_e64 v28, v248, v250, s[74:75]                // 0000000085F8: D100001C 012BF5F8
	v_lshrrev_b32_e32 v28, 16, v28                             // 000000008600: 20383890
	v_cmp_u_f32_e64 s[74:75], v55, v55                         // 000000008604: D048004A 00026F37
	v_bfe_u32 v248, v55, 16, 1                                 // 00000000860C: D1C800F8 02052137
	v_add3_u32 v248, v55, v248, v251                           // 000000008614: D1FF00F8 07EFF137
	v_cndmask_b32_e64 v29, v248, v250, s[74:75]                // 00000000861C: D100001D 012BF5F8
	v_and_or_b32 v147, v29, v249, v28                          // 000000008624: D2010093 0473F31D
	v_cmp_u_f32_e64 s[74:75], v56, v56                         // 00000000862C: D048004A 00027138
	v_bfe_u32 v248, v56, 16, 1                                 // 000000008634: D1C800F8 02052138
	v_add3_u32 v248, v56, v248, v251                           // 00000000863C: D1FF00F8 07EFF138
	v_cndmask_b32_e64 v28, v248, v250, s[74:75]                // 000000008644: D100001C 012BF5F8
	v_lshrrev_b32_e32 v28, 16, v28                             // 00000000864C: 20383890
	v_cmp_u_f32_e64 s[74:75], v57, v57                         // 000000008650: D048004A 00027339
	v_bfe_u32 v248, v57, 16, 1                                 // 000000008658: D1C800F8 02052139
	v_add3_u32 v248, v57, v248, v251                           // 000000008660: D1FF00F8 07EFF139
	v_cndmask_b32_e64 v29, v248, v250, s[74:75]                // 000000008668: D100001D 012BF5F8
	v_and_or_b32 v148, v29, v249, v28                          // 000000008670: D2010094 0473F31D
	v_cmp_u_f32_e64 s[74:75], v58, v58                         // 000000008678: D048004A 0002753A
	v_bfe_u32 v248, v58, 16, 1                                 // 000000008680: D1C800F8 0205213A
	v_add3_u32 v248, v58, v248, v251                           // 000000008688: D1FF00F8 07EFF13A
	v_cndmask_b32_e64 v28, v248, v250, s[74:75]                // 000000008690: D100001C 012BF5F8
	v_lshrrev_b32_e32 v28, 16, v28                             // 000000008698: 20383890
	v_cmp_u_f32_e64 s[74:75], v59, v59                         // 00000000869C: D048004A 0002773B
	v_bfe_u32 v248, v59, 16, 1                                 // 0000000086A4: D1C800F8 0205213B
	v_add3_u32 v248, v59, v248, v251                           // 0000000086AC: D1FF00F8 07EFF13B
	v_cndmask_b32_e64 v29, v248, v250, s[74:75]                // 0000000086B4: D100001D 012BF5F8
	v_and_or_b32 v149, v29, v249, v28                          // 0000000086BC: D2010095 0473F31D
	v_mfma_f32_16x16x16_bf16 v[80:83], v[104:105], a[140:141], v[80:83]// 0000000086C4: D3E10050 15431968
	v_add_u32_e32 v7, s66, v7                                  // 0000000086CC: 680E0E42
	v_add_u32_e32 v8, s66, v8                                  // 0000000086D0: 68101042
	v_mfma_f32_16x16x16_bf16 v[80:83], v[106:107], a[142:143], v[80:83]// 0000000086D4: D3E10050 15431D6A
	s_waitcnt lgkmcnt(0)                                       // 0000000086DC: BF8CC07F
	s_barrier                                                  // 0000000086E0: BF8A0000
	v_mfma_f32_16x16x16_bf16 v[152:155], v[108:109], v[144:145], v[152:155]// 0000000086E4: D3E10098 0663216C
	v_subrev_f32_dpp v72, v150, v72 quad_perm:[0,0,0,0] row_mask:0xf bank_mask:0xf// 0000000086EC: 069090FA FF000096
	v_subrev_f32_dpp v73, v150, v73 quad_perm:[1,1,1,1] row_mask:0xf bank_mask:0xf// 0000000086F4: 069292FA FF005596
	v_subrev_f32_dpp v74, v150, v74 quad_perm:[2,2,2,2] row_mask:0xf bank_mask:0xf// 0000000086FC: 069494FA FF00AA96
	v_mfma_f32_16x16x16_bf16 v[156:159], v[110:111], v[144:145], v[156:159]// 000000008704: D3E1009C 0673216E
	v_subrev_f32_dpp v75, v150, v75 quad_perm:[3,3,3,3] row_mask:0xf bank_mask:0xf// 00000000870C: 069696FA FF00FF96
	v_subrev_f32_dpp v76, v150, v76 quad_perm:[0,0,0,0] row_mask:0xf bank_mask:0xf// 000000008714: 069898FA FF000096
	v_subrev_f32_dpp v77, v150, v77 quad_perm:[1,1,1,1] row_mask:0xf bank_mask:0xf// 00000000871C: 069A9AFA FF005596
	v_mfma_f32_16x16x16_bf16 v[160:163], v[112:113], v[144:145], v[160:163]// 000000008724: D3E100A0 06832170
	v_mul_f32_e32 v72, v48, v72                                // 00000000872C: 0A909130
	v_mul_f32_e32 v73, v49, v73                                // 000000008730: 0A929331
	v_mul_f32_e32 v74, v50, v74                                // 000000008734: 0A949532
	v_mfma_f32_16x16x16_bf16 v[164:167], v[114:115], v[144:145], v[164:167]// 000000008738: D3E100A4 06932172
	v_mul_f32_e32 v75, v51, v75                                // 000000008740: 0A969733
	v_mul_f32_e32 v76, v52, v76                                // 000000008744: 0A989934
	v_mul_f32_e32 v77, v53, v77                                // 000000008748: 0A9A9B35
	v_mfma_f32_16x16x16_bf16 v[168:171], v[116:117], v[144:145], v[168:171]// 00000000874C: D3E100A8 06A32174
	v_cmp_u_f32_e64 s[74:75], v72, v72                         // 000000008754: D048004A 00029148
	v_bfe_u32 v248, v72, 16, 1                                 // 00000000875C: D1C800F8 02052148
	v_add3_u32 v248, v72, v248, v251                           // 000000008764: D1FF00F8 07EFF148
	v_cndmask_b32_e64 v28, v248, v250, s[74:75]                // 00000000876C: D100001C 012BF5F8
	v_lshrrev_b32_e32 v28, 16, v28                             // 000000008774: 20383890
	v_cmp_u_f32_e64 s[74:75], v73, v73                         // 000000008778: D048004A 00029349
	v_bfe_u32 v248, v73, 16, 1                                 // 000000008780: D1C800F8 02052149
	v_add3_u32 v248, v73, v248, v251                           // 000000008788: D1FF00F8 07EFF149
	v_cndmask_b32_e64 v29, v248, v250, s[74:75]                // 000000008790: D100001D 012BF5F8
	v_and_or_b32 v72, v29, v249, v28                           // 000000008798: D2010048 0473F31D
	v_cmp_u_f32_e64 s[74:75], v74, v74                         // 0000000087A0: D048004A 0002954A
	v_bfe_u32 v248, v74, 16, 1                                 // 0000000087A8: D1C800F8 0205214A
	v_add3_u32 v248, v74, v248, v251                           // 0000000087B0: D1FF00F8 07EFF14A
	v_cndmask_b32_e64 v28, v248, v250, s[74:75]                // 0000000087B8: D100001C 012BF5F8
	v_lshrrev_b32_e32 v28, 16, v28                             // 0000000087C0: 20383890
	v_cmp_u_f32_e64 s[74:75], v75, v75                         // 0000000087C4: D048004A 0002974B
	v_bfe_u32 v248, v75, 16, 1                                 // 0000000087CC: D1C800F8 0205214B
	v_add3_u32 v248, v75, v248, v251                           // 0000000087D4: D1FF00F8 07EFF14B
	v_cndmask_b32_e64 v29, v248, v250, s[74:75]                // 0000000087DC: D100001D 012BF5F8
	v_and_or_b32 v73, v29, v249, v28                           // 0000000087E4: D2010049 0473F31D
	v_cmp_u_f32_e64 s[74:75], v76, v76                         // 0000000087EC: D048004A 0002994C
	v_bfe_u32 v248, v76, 16, 1                                 // 0000000087F4: D1C800F8 0205214C
	v_add3_u32 v248, v76, v248, v251                           // 0000000087FC: D1FF00F8 07EFF14C
	v_cndmask_b32_e64 v28, v248, v250, s[74:75]                // 000000008804: D100001C 012BF5F8
	v_lshrrev_b32_e32 v28, 16, v28                             // 00000000880C: 20383890
	v_cmp_u_f32_e64 s[74:75], v77, v77                         // 000000008810: D048004A 00029B4D
	v_bfe_u32 v248, v77, 16, 1                                 // 000000008818: D1C800F8 0205214D
	v_add3_u32 v248, v77, v248, v251                           // 000000008820: D1FF00F8 07EFF14D
	v_cndmask_b32_e64 v29, v248, v250, s[74:75]                // 000000008828: D100001D 012BF5F8
	v_and_or_b32 v74, v29, v249, v28                           // 000000008830: D201004A 0473F31D
	v_mfma_f32_16x16x16_bf16 v[172:175], v[118:119], v[144:145], v[172:175]// 000000008838: D3E100AC 06B32176
	v_mov_b32_dpp v16, v72 quad_perm:[1,0,3,2] row_mask:0xf bank_mask:0xf// 000000008840: 7E2002FA FF00B148
	v_perm_b32 v48, v16, v72, v15                              // 000000008848: D1ED0030 043E9110
	v_mov_b32_dpp v16, v73 quad_perm:[1,0,3,2] row_mask:0xf bank_mask:0xf// 000000008850: 7E2002FA FF00B149
	v_mfma_f32_16x16x16_bf16 v[176:179], v[120:121], v[144:145], v[176:179]// 000000008858: D3E100B0 06C32178
	ds_write_b32 v18, v48 offset:17408                         // 000000008860: D81A4400 00003012
	v_mfma_f32_16x16x16_bf16 v[180:183], v[122:123], v[144:145], v[180:183]// 000000008868: D3E100B4 06D3217A
	v_perm_b32 v49, v16, v73, v15                              // 000000008870: D1ED0031 043E9310
	v_mov_b32_dpp v16, v74 quad_perm:[1,0,3,2] row_mask:0xf bank_mask:0xf// 000000008878: 7E2002FA FF00B14A
	v_perm_b32 v50, v16, v74, v15                              // 000000008880: D1ED0032 043E9510
	v_mfma_f32_16x16x16_bf16 v[184:187], v[108:109], v[146:147], v[184:187]// 000000008888: D3E100B8 06E3256C
	ds_write_b32 v18, v49 offset:17952                         // 000000008890: D81A4620 00003112
	v_mfma_f32_16x16x16_bf16 v[188:191], v[110:111], v[146:147], v[188:191]// 000000008898: D3E100BC 06F3256E
	v_subrev_f32_dpp v78, v150, v78 quad_perm:[2,2,2,2] row_mask:0xf bank_mask:0xf// 0000000088A0: 069C9CFA FF00AA96
	v_subrev_f32_dpp v79, v150, v79 quad_perm:[3,3,3,3] row_mask:0xf bank_mask:0xf// 0000000088A8: 069E9EFA FF00FF96
	v_subrev_f32_dpp v80, v150, v80 quad_perm:[0,0,0,0] row_mask:0xf bank_mask:0xf// 0000000088B0: 06A0A0FA FF000096
	v_mfma_f32_16x16x16_bf16 v[192:195], v[112:113], v[146:147], v[192:195]// 0000000088B8: D3E100C0 07032570
	ds_write_b32 v18, v50 offset:19712                         // 0000000088C0: D81A4D00 00003212
	v_mfma_f32_16x16x16_bf16 v[196:199], v[114:115], v[146:147], v[196:199]// 0000000088C8: D3E100C4 07132572
	v_subrev_f32_dpp v81, v150, v81 quad_perm:[1,1,1,1] row_mask:0xf bank_mask:0xf// 0000000088D0: 06A2A2FA FF005596
	v_subrev_f32_dpp v82, v150, v82 quad_perm:[2,2,2,2] row_mask:0xf bank_mask:0xf// 0000000088D8: 06A4A4FA FF00AA96
	v_subrev_f32_dpp v83, v150, v83 quad_perm:[3,3,3,3] row_mask:0xf bank_mask:0xf// 0000000088E0: 06A6A6FA FF00FF96
	v_mfma_f32_16x16x16_bf16 v[200:203], v[116:117], v[146:147], v[200:203]// 0000000088E8: D3E100C8 07232574
	v_mul_f32_e32 v78, v54, v78                                // 0000000088F0: 0A9C9D36
	v_mul_f32_e32 v79, v55, v79                                // 0000000088F4: 0A9E9F37
	v_mul_f32_e32 v80, v56, v80                                // 0000000088F8: 0AA0A138
	v_mfma_f32_16x16x16_bf16 v[204:207], v[118:119], v[146:147], v[204:207]// 0000000088FC: D3E100CC 07332576
	v_mul_f32_e32 v81, v57, v81                                // 000000008904: 0AA2A339
	v_mul_f32_e32 v82, v58, v82                                // 000000008908: 0AA4A53A
	v_mul_f32_e32 v83, v59, v83                                // 00000000890C: 0AA6A73B
	v_mfma_f32_16x16x16_bf16 v[208:211], v[120:121], v[146:147], v[208:211]// 000000008910: D3E100D0 07432578
	v_cmp_u_f32_e64 s[74:75], v78, v78                         // 000000008918: D048004A 00029D4E
	v_bfe_u32 v248, v78, 16, 1                                 // 000000008920: D1C800F8 0205214E
	v_add3_u32 v248, v78, v248, v251                           // 000000008928: D1FF00F8 07EFF14E
	v_cndmask_b32_e64 v28, v248, v250, s[74:75]                // 000000008930: D100001C 012BF5F8
	v_lshrrev_b32_e32 v28, 16, v28                             // 000000008938: 20383890
	v_cmp_u_f32_e64 s[74:75], v79, v79                         // 00000000893C: D048004A 00029F4F
	v_bfe_u32 v248, v79, 16, 1                                 // 000000008944: D1C800F8 0205214F
	v_add3_u32 v248, v79, v248, v251                           // 00000000894C: D1FF00F8 07EFF14F
	v_cndmask_b32_e64 v29, v248, v250, s[74:75]                // 000000008954: D100001D 012BF5F8
	v_and_or_b32 v75, v29, v249, v28                           // 00000000895C: D201004B 0473F31D
	v_cmp_u_f32_e64 s[74:75], v80, v80                         // 000000008964: D048004A 0002A150
	v_bfe_u32 v248, v80, 16, 1                                 // 00000000896C: D1C800F8 02052150
	v_add3_u32 v248, v80, v248, v251                           // 000000008974: D1FF00F8 07EFF150
	v_cndmask_b32_e64 v28, v248, v250, s[74:75]                // 00000000897C: D100001C 012BF5F8
	v_lshrrev_b32_e32 v28, 16, v28                             // 000000008984: 20383890
	v_cmp_u_f32_e64 s[74:75], v81, v81                         // 000000008988: D048004A 0002A351
	v_bfe_u32 v248, v81, 16, 1                                 // 000000008990: D1C800F8 02052151
	v_add3_u32 v248, v81, v248, v251                           // 000000008998: D1FF00F8 07EFF151
	v_cndmask_b32_e64 v29, v248, v250, s[74:75]                // 0000000089A0: D100001D 012BF5F8
	v_and_or_b32 v76, v29, v249, v28                           // 0000000089A8: D201004C 0473F31D
	v_cmp_u_f32_e64 s[74:75], v82, v82                         // 0000000089B0: D048004A 0002A552
	v_bfe_u32 v248, v82, 16, 1                                 // 0000000089B8: D1C800F8 02052152
	v_add3_u32 v248, v82, v248, v251                           // 0000000089C0: D1FF00F8 07EFF152
	v_cndmask_b32_e64 v28, v248, v250, s[74:75]                // 0000000089C8: D100001C 012BF5F8
	v_lshrrev_b32_e32 v28, 16, v28                             // 0000000089D0: 20383890
	v_cmp_u_f32_e64 s[74:75], v83, v83                         // 0000000089D4: D048004A 0002A753
	v_bfe_u32 v248, v83, 16, 1                                 // 0000000089DC: D1C800F8 02052153
	v_add3_u32 v248, v83, v248, v251                           // 0000000089E4: D1FF00F8 07EFF153
	v_cndmask_b32_e64 v29, v248, v250, s[74:75]                // 0000000089EC: D100001D 012BF5F8
	v_and_or_b32 v77, v29, v249, v28                           // 0000000089F4: D201004D 0473F31D
	v_mfma_f32_16x16x16_bf16 v[212:215], v[122:123], v[146:147], v[212:215]// 0000000089FC: D3E100D4 0753257A
	v_mov_b32_dpp v16, v75 quad_perm:[1,0,3,2] row_mask:0xf bank_mask:0xf// 000000008A04: 7E2002FA FF00B14B
	v_perm_b32 v51, v16, v75, v15                              // 000000008A0C: D1ED0033 043E9710
	v_mov_b32_dpp v16, v76 quad_perm:[1,0,3,2] row_mask:0xf bank_mask:0xf// 000000008A14: 7E2002FA FF00B14C
	v_mfma_f32_16x16x16_bf16 v[216:219], v[108:109], v[148:149], v[216:219]// 000000008A1C: D3E100D8 0763296C
	ds_write_b32 v18, v51 offset:20256                         // 000000008A24: D81A4F20 00003312
	v_mfma_f32_16x16x16_bf16 v[220:223], v[110:111], v[148:149], v[220:223]// 000000008A2C: D3E100DC 0773296E
	v_perm_b32 v52, v16, v76, v15                              // 000000008A34: D1ED0034 043E9910
	v_mov_b32_dpp v16, v77 quad_perm:[1,0,3,2] row_mask:0xf bank_mask:0xf// 000000008A3C: 7E2002FA FF00B14D
	v_perm_b32 v53, v16, v77, v15                              // 000000008A44: D1ED0035 043E9B10
	v_mfma_f32_16x16x16_bf16 v[224:227], v[112:113], v[148:149], v[224:227]// 000000008A4C: D3E100E0 07832970
	ds_write_b32 v18, v52 offset:22016                         // 000000008A54: D81A5600 00003412
	ds_write_b32 v18, v53 offset:22560                         // 000000008A5C: D81A5820 00003512
	v_mfma_f32_16x16x16_bf16 v[228:231], v[114:115], v[148:149], v[228:231]// 000000008A64: D3E100E4 07932972
	v_mfma_f32_16x16x16_bf16 v[232:235], v[116:117], v[148:149], v[232:235]// 000000008A6C: D3E100E8 07A32974
	ds_write_b32 v13, v84 offset:4352                          // 000000008A74: D81A1100 0000540D
	ds_write_b32 v13, v85 offset:5408                          // 000000008A7C: D81A1520 0000550D
	v_mfma_f32_16x16x16_bf16 v[236:239], v[118:119], v[148:149], v[236:239]// 000000008A84: D3E100EC 07B32976
	v_mfma_f32_16x16x16_bf16 v[240:243], v[120:121], v[148:149], v[240:243]// 000000008A8C: D3E100F0 07C32978
	ds_write_b32 v13, v86 offset:4480                          // 000000008A94: D81A1180 0000560D
	ds_write_b32 v13, v87 offset:5536                          // 000000008A9C: D81A15A0 0000570D
	v_mfma_f32_16x16x16_bf16 v[244:247], v[122:123], v[148:149], v[244:247]// 000000008AA4: D3E100F4 07D3297A
	s_nop 0                                                    // 000000008AAC: BF800000
	s_nop 0                                                    // 000000008AB0: BF800000
	s_nop 0                                                    // 000000008AB4: BF800000
	s_barrier                                                  // 000000008AB8: BF8A0000
	v_mfma_f32_16x16x16_bf16 a[160:163], a[144:145], v[72:73], a[160:163]// 000000008ABC: D3E180A0 0E829190
	ds_read_b32 v124, v21 offset:51200                         // 000000008AC4: D86CC800 7C000015
	ds_read_b32 v150, v21 offset:51456                         // 000000008ACC: D86CC900 96000015
	v_mfma_f32_16x16x16_bf16 a[164:167], a[146:147], v[72:73], a[164:167]// 000000008AD4: D3E180A4 0E929192
	buffer_atomic_add_f32 v136, v7, s[32:35], 0 offen          // 000000008ADC: E1341000 80088807
	v_mfma_f32_16x16x16_bf16 a[168:171], a[148:149], v[72:73], a[168:171]// 000000008AE4: D3E180A8 0EA29194
	s_waitcnt lgkmcnt(6)                                       // 000000008AEC: BF8CC67F
	s_barrier                                                  // 000000008AF0: BF8A0000
	v_mfma_f32_16x16x16_bf16 a[172:175], a[150:151], v[72:73], a[172:175]// 000000008AF4: D3E180AC 0EB29196
	v_mfma_f32_16x16x16_bf16 a[176:179], a[152:153], v[72:73], a[176:179]// 000000008AFC: D3E180B0 0EC29198
	ds_read_b128 v[48:51], v17 offset:17408                    // 000000008B04: D9FE4400 30000011
	v_mfma_f32_16x16x16_bf16 a[180:183], a[154:155], v[72:73], a[180:183]// 000000008B0C: D3E180B4 0ED2919A
	v_mfma_f32_16x16x16_bf16 a[184:187], a[156:157], v[72:73], a[184:187]// 000000008B14: D3E180B8 0EE2919C
	ds_read_b128 v[52:55], v17 offset:18560                    // 000000008B1C: D9FE4880 34000011
	v_mfma_f32_16x16x16_bf16 a[188:191], a[158:159], v[72:73], a[188:191]// 000000008B24: D3E180BC 0EF2919E
	buffer_atomic_add_f32 v137, v8, s[32:35], 0 offen          // 000000008B2C: E1341000 80088908
	v_mfma_f32_16x16x16_bf16 a[192:195], a[144:145], v[74:75], a[192:195]// 000000008B34: D3E180C0 0F029590
	ds_read_b128 v[56:59], v17 offset:19712                    // 000000008B3C: D9FE4D00 38000011
	v_mfma_f32_16x16x16_bf16 a[196:199], a[146:147], v[74:75], a[196:199]// 000000008B44: D3E180C4 0F129592
	v_mfma_f32_16x16x16_bf16 a[200:203], a[148:149], v[74:75], a[200:203]// 000000008B4C: D3E180C8 0F229594
	ds_read_b128 v[60:63], v17 offset:20864                    // 000000008B54: D9FE5180 3C000011
	v_mfma_f32_16x16x16_bf16 a[204:207], a[150:151], v[74:75], a[204:207]// 000000008B5C: D3E180CC 0F329596
	v_mfma_f32_16x16x16_bf16 a[208:211], a[152:153], v[74:75], a[208:211]// 000000008B64: D3E180D0 0F429598
	ds_read_b128 v[64:67], v17 offset:22016                    // 000000008B6C: D9FE5600 40000011
	v_mfma_f32_16x16x16_bf16 a[212:215], a[154:155], v[74:75], a[212:215]// 000000008B74: D3E180D4 0F52959A
	buffer_atomic_add_f32 v138, v7, s[32:35], 0 offen offset:128// 000000008B7C: E1341080 80088A07
	v_mfma_f32_16x16x16_bf16 a[216:219], a[156:157], v[74:75], a[216:219]// 000000008B84: D3E180D8 0F62959C
	ds_read_b128 v[68:71], v17 offset:23168                    // 000000008B8C: D9FE5A80 44000011
	v_mfma_f32_16x16x16_bf16 a[220:223], a[158:159], v[74:75], a[220:223]// 000000008B94: D3E180DC 0F72959E
	v_mfma_f32_16x16x16_bf16 a[224:227], a[144:145], v[76:77], a[224:227]// 000000008B9C: D3E180E0 0F829990
	ds_write_b32 v13, v88 offset:13056                         // 000000008BA4: D81A3300 0000580D
	v_mfma_f32_16x16x16_bf16 a[228:231], a[146:147], v[76:77], a[228:231]// 000000008BAC: D3E180E4 0F929992
	v_mfma_f32_16x16x16_bf16 a[232:235], a[148:149], v[76:77], a[232:235]// 000000008BB4: D3E180E8 0FA29994
	ds_write_b32 v13, v89 offset:14112                         // 000000008BBC: D81A3720 0000590D
	v_mfma_f32_16x16x16_bf16 a[236:239], a[150:151], v[76:77], a[236:239]// 000000008BC4: D3E180EC 0FB29996
	buffer_atomic_add_f32 v139, v8, s[32:35], 0 offen offset:128// 000000008BCC: E1341080 80088B08
	v_mfma_f32_16x16x16_bf16 a[240:243], a[152:153], v[76:77], a[240:243]// 000000008BD4: D3E180F0 0FC29998
	ds_write_b32 v13, v90 offset:13184                         // 000000008BDC: D81A3380 00005A0D
	v_mfma_f32_16x16x16_bf16 a[244:247], a[154:155], v[76:77], a[244:247]// 000000008BE4: D3E180F4 0FD2999A
	v_mfma_f32_16x16x16_bf16 a[248:251], a[156:157], v[76:77], a[248:251]// 000000008BEC: D3E180F8 0FE2999C
	ds_write_b32 v13, v91 offset:14240                         // 000000008BF4: D81A37A0 00005B0D
	v_mfma_f32_16x16x16_bf16 a[252:255], a[158:159], v[76:77], a[252:255]// 000000008BFC: D3E180FC 0FF2999E
	s_waitcnt vmcnt(8) lgkmcnt(4)                              // 000000008C04: BF8C0478
	s_barrier                                                  // 000000008C08: BF8A0000
	v_mfma_f32_16x16x16_bf16 v[128:131], v[48:49], a[48:49], 0 // 000000008C0C: D3E10080 12026130
	ds_read_b128 a[144:147], v10                               // 000000008C14: DBFE0000 9000000A
	v_mov_b32_e32 v36, 0                                       // 000000008C1C: 7E480280
	s_mov_b64 exec, s[88:89]                                   // 000000008C20: BEFE0158
	buffer_load_dword v36, v1, s[8:11], 0 idxen                // 000000008C24: E0502000 80022401
	s_mov_b64 exec, s[86:87]                                   // 000000008C2C: BEFE0156
	v_mfma_f32_16x16x16_bf16 v[128:131], v[50:51], a[52:53], v[128:131]// 000000008C30: D3E10080 16026932
	v_mul_f32_e32 v124, s48, v124                              // 000000008C38: 0AF8F830
	s_nop 0                                                    // 000000008C3C: BF800000
	v_mfma_f32_16x16x16_bf16 v[128:131], v[52:53], a[56:57], v[128:131]// 000000008C40: D3E10080 16027134
	ds_read_b128 a[148:151], v10 offset:512                    // 000000008C48: DBFE0200 9400000A
	v_mov_b32_e32 v37, 0                                       // 000000008C50: 7E4A0280
	s_mov_b64 exec, s[88:89]                                   // 000000008C54: BEFE0158
	buffer_load_dword v37, v2, s[8:11], 0 idxen                // 000000008C58: E0502000 80022502
	s_mov_b64 exec, s[86:87]                                   // 000000008C60: BEFE0156
	v_mfma_f32_16x16x16_bf16 v[128:131], v[54:55], a[60:61], v[128:131]// 000000008C64: D3E10080 16027936
	v_mfma_f32_16x16x16_bf16 v[128:131], v[56:57], a[64:65], v[128:131]// 000000008C6C: D3E10080 16028138
	ds_read_b128 a[152:155], v10 offset:2176                   // 000000008C74: DBFE0880 9800000A
	v_mov_b32_e32 v38, 0                                       // 000000008C7C: 7E4C0280
	s_mov_b64 exec, s[88:89]                                   // 000000008C80: BEFE0158
	buffer_load_dword v38, v3, s[8:11], 0 idxen                // 000000008C84: E0502000 80022603
	s_mov_b64 exec, s[86:87]                                   // 000000008C8C: BEFE0156
	v_mfma_f32_16x16x16_bf16 v[128:131], v[58:59], a[68:69], v[128:131]// 000000008C90: D3E10080 1602893A
	v_perm_b32 v84, v33, v32, s63                              // 000000008C98: D1ED0054 00FE4121
	v_perm_b32 v85, v33, v32, s64                              // 000000008CA0: D1ED0055 01024121
	v_mfma_f32_16x16x16_bf16 v[128:131], v[60:61], a[72:73], v[128:131]// 000000008CA8: D3E10080 1602913C
	ds_read_b128 a[156:159], v10 offset:2688                   // 000000008CB0: DBFE0A80 9C00000A
	v_mov_b32_e32 v39, 0                                       // 000000008CB8: 7E4E0280
	s_mov_b64 exec, s[88:89]                                   // 000000008CBC: BEFE0158
	buffer_load_dword v39, v4, s[8:11], 0 idxen                // 000000008CC0: E0502000 80022704
	s_mov_b64 exec, s[86:87]                                   // 000000008CC8: BEFE0156
	v_mfma_f32_16x16x16_bf16 v[128:131], v[62:63], a[76:77], v[128:131]// 000000008CCC: D3E10080 1602993E
	v_perm_b32 v86, v35, v34, s63                              // 000000008CD4: D1ED0056 00FE4523
	v_perm_b32 v87, v35, v34, s64                              // 000000008CDC: D1ED0057 01024523
	v_mfma_f32_16x16x16_bf16 v[128:131], v[64:65], a[80:81], v[128:131]// 000000008CE4: D3E10080 1602A140
	ds_read_b128 v[92:95], v10 offset:8704                     // 000000008CEC: D9FE2200 5C00000A
	v_mov_b32_e32 v44, 0                                       // 000000008CF4: 7E580280
	s_mov_b64 exec, s[88:89]                                   // 000000008CF8: BEFE0158
	buffer_load_dword v44, v252, s[20:23], 0 idxen             // 000000008CFC: E0502000 80052CFC
	s_mov_b64 exec, s[86:87]                                   // 000000008D04: BEFE0156
	v_mfma_f32_16x16x16_bf16 v[128:131], v[66:67], a[84:85], v[128:131]// 000000008D08: D3E10080 1602A942
	v_perm_b32 v88, v41, v40, s63                              // 000000008D10: D1ED0058 00FE5129
	v_perm_b32 v89, v41, v40, s64                              // 000000008D18: D1ED0059 01025129
	v_mfma_f32_16x16x16_bf16 v[128:131], v[68:69], a[88:89], v[128:131]// 000000008D20: D3E10080 1602B144
	ds_read_b128 v[96:99], v10 offset:9216                     // 000000008D28: D9FE2400 6000000A
	v_mov_b32_e32 v45, 0                                       // 000000008D30: 7E5A0280
	s_mov_b64 exec, s[88:89]                                   // 000000008D34: BEFE0158
	buffer_load_dword v45, v253, s[20:23], 0 idxen             // 000000008D38: E0502000 80052DFD
	s_mov_b64 exec, s[86:87]                                   // 000000008D40: BEFE0156
	v_mfma_f32_16x16x16_bf16 v[128:131], v[70:71], a[92:93], v[128:131]// 000000008D44: D3E10080 1602B946
	v_perm_b32 v90, v43, v42, s63                              // 000000008D4C: D1ED005A 00FE552B
	v_perm_b32 v91, v43, v42, s64                              // 000000008D54: D1ED005B 0102552B
	v_mfma_f32_16x16x16_bf16 v[132:135], v[48:49], a[50:51], 0 // 000000008D5C: D3E10084 12026530
	ds_read_b128 v[100:103], v10 offset:10880                  // 000000008D64: D9FE2A80 6400000A
	v_mov_b32_e32 v46, 0                                       // 000000008D6C: 7E5C0280
	s_mov_b64 exec, s[88:89]                                   // 000000008D70: BEFE0158
	buffer_load_dword v46, v254, s[20:23], 0 idxen             // 000000008D74: E0502000 80052EFE
	s_mov_b64 exec, s[86:87]                                   // 000000008D7C: BEFE0156
	v_mfma_f32_16x16x16_bf16 v[132:135], v[50:51], a[54:55], v[132:135]// 000000008D80: D3E10084 16126D32
	v_mov_b32_dpp v127, v124 quad_perm:[3,3,3,3] row_mask:0xf bank_mask:0xf// 000000008D88: 7EFE02FA FF00FF7C
	v_mov_b32_dpp v126, v124 quad_perm:[2,2,2,2] row_mask:0xf bank_mask:0xf// 000000008D90: 7EFC02FA FF00AA7C
	v_mfma_f32_16x16x16_bf16 v[132:135], v[52:53], a[58:59], v[132:135]// 000000008D98: D3E10084 16127534
	ds_read_b128 v[104:107], v10 offset:11392                  // 000000008DA0: D9FE2C80 6800000A
	v_mov_b32_e32 v47, 0                                       // 000000008DA8: 7E5E0280
	s_mov_b64 exec, s[88:89]                                   // 000000008DAC: BEFE0158
	buffer_load_dword v47, v255, s[20:23], 0 idxen             // 000000008DB0: E0502000 80052FFF
	s_mov_b64 exec, s[86:87]                                   // 000000008DB8: BEFE0156
	v_mfma_f32_16x16x16_bf16 v[132:135], v[54:55], a[62:63], v[132:135]// 000000008DBC: D3E10084 16127D36
	v_mov_b32_dpp v125, v124 quad_perm:[1,1,1,1] row_mask:0xf bank_mask:0xf// 000000008DC4: 7EFA02FA FF00557C
	v_mov_b32_dpp v124, v124 quad_perm:[0,0,0,0] row_mask:0xf bank_mask:0xf// 000000008DCC: 7EF802FA FF00007C
	s_add_u32 s60, 64, s59                                     // 000000008DD4: 803C3BC0
	v_mfma_f32_16x16x16_bf16 v[132:135], v[56:57], a[66:67], v[132:135]// 000000008DD8: D3E10084 16128538
	buffer_load_dword v9, s[24:27], 0 idxen lds                // 000000008DE0: E0512000 80060009
	v_mfma_f32_16x16x16_bf16 v[132:135], v[58:59], a[70:71], v[132:135]// 000000008DE8: D3E10084 16128D3A
	s_cmp_lt_u32 s60, s58                                      // 000000008DF0: BF0A3A3C
	s_cselect_b32 s68, s68, 0                                  // 000000008DF4: 85448044
	s_cselect_b32 s97, s97, 0                                  // 000000008DF8: 85618061
	s_cselect_b32 s69, s69, 0                                  // 000000008DFC: 85458045
	v_mfma_f32_16x16x16_bf16 v[132:135], v[60:61], a[74:75], v[132:135]// 000000008E00: D3E10084 1612953C
	v_add_u32_e32 v1, s68, v1                                  // 000000008E08: 68020244
	v_add_u32_e32 v2, s68, v2                                  // 000000008E0C: 68040444
	v_add_u32_e32 v3, s68, v3                                  // 000000008E10: 68060644
	v_add_u32_e32 v4, s68, v4                                  // 000000008E14: 68080844
	v_mfma_f32_16x16x16_bf16 v[132:135], v[62:63], a[78:79], v[132:135]// 000000008E18: D3E10084 16129D3E
	v_add_u32_e32 v252, s97, v252                              // 000000008E20: 69F9F861
	v_add_u32_e32 v253, s97, v253                              // 000000008E24: 69FBFA61
	v_add_u32_e32 v254, s97, v254                              // 000000008E28: 69FDFC61
	v_add_u32_e32 v255, s97, v255                              // 000000008E2C: 69FFFE61
	v_mfma_f32_16x16x16_bf16 v[132:135], v[64:65], a[82:83], v[132:135]// 000000008E30: D3E10084 1612A540
	s_mov_b32 m0, s76                                          // 000000008E38: BEFC004C
	v_add_u32_e32 v9, s69, v9                                  // 000000008E3C: 68121245
	v_mfma_f32_16x16x16_bf16 v[132:135], v[66:67], a[86:87], v[132:135]// 000000008E40: D3E10084 1612AD42
	s_cmp_ge_u32 s59, 16                                       // 000000008E48: BF09903B
	s_cselect_b32 s66, s67, s66                                // 000000008E4C: 85424243
	v_mfma_f32_16x16x16_bf16 v[132:135], v[68:69], a[90:91], v[132:135]// 000000008E50: D3E10084 1612B544
	s_addk_i32 s59, 0x10                                       // 000000008E58: B73B0010
	s_nop 0                                                    // 000000008E5C: BF800000
	s_cmp_lt_i32 s59, s58                                      // 000000008E60: BF043A3B
	v_mfma_f32_16x16x16_bf16 v[132:135], v[70:71], a[94:95], v[132:135]// 000000008E64: D3E10084 1612BD46
	s_cbranch_scc0 label_10B2                                  // 000000008E6C: BF84FC8C
	s_waitcnt lgkmcnt(0)                                       // 000000008E70: BF8CC07F
	s_barrier                                                  // 000000008E74: BF8A0000
	v_mfma_f32_16x16x16_bf16 v[48:51], a[144:145], a[0:1], 0   // 000000008E78: D3E10030 1A020190
	v_mul_f32_e32 v128, s47, v128                              // 000000008E80: 0B01002F
	v_mul_f32_e32 v129, s47, v129                              // 000000008E84: 0B03022F
	v_mfma_f32_16x16x16_bf16 v[48:51], a[146:147], a[2:3], v[48:51]// 000000008E88: D3E10030 1CC20592
	ds_write_b32 v11, v40 offset:8704                          // 000000008E90: D81A2200 0000280B
	ds_write_b32 v11, v41 offset:9760                          // 000000008E98: D81A2620 0000290B
	v_mfma_f32_16x16x16_bf16 v[48:51], a[148:149], a[4:5], v[48:51]// 000000008EA0: D3E10030 1CC20994
	v_mul_f32_e32 v130, s47, v130                              // 000000008EA8: 0B05042F
	v_mul_f32_e32 v131, s47, v131                              // 000000008EAC: 0B07062F
	v_mfma_f32_16x16x16_bf16 v[48:51], a[150:151], a[6:7], v[48:51]// 000000008EB0: D3E10030 1CC20D96
	ds_write_b32 v11, v42 offset:8832                          // 000000008EB8: D81A2280 00002A0B
	ds_write_b32 v11, v43 offset:9888                          // 000000008EC0: D81A26A0 00002B0B
	v_mfma_f32_16x16x16_bf16 v[48:51], a[152:153], a[8:9], v[48:51]// 000000008EC8: D3E10030 1CC21198
	v_mul_f32_e32 v132, s47, v132                              // 000000008ED0: 0B09082F
	v_mul_f32_e32 v133, s47, v133                              // 000000008ED4: 0B0B0A2F
	v_mfma_f32_16x16x16_bf16 v[48:51], a[154:155], a[10:11], v[48:51]// 000000008ED8: D3E10030 1CC2159A
	ds_write_b64 v20, v[128:129] offset:24320                  // 000000008EE0: D89A5F00 00008014
	v_mfma_f32_16x16x16_bf16 v[48:51], a[156:157], a[12:13], v[48:51]// 000000008EE8: D3E10030 1CC2199C
	v_mul_f32_e32 v134, s47, v134                              // 000000008EF0: 0B0D0C2F
	v_mul_f32_e32 v135, s47, v135                              // 000000008EF4: 0B0F0E2F
	v_mfma_f32_16x16x16_bf16 v[48:51], a[158:159], a[14:15], v[48:51]// 000000008EF8: D3E10030 1CC21D9E
	ds_write_b64 v20, v[130:131] offset:24832                  // 000000008F00: D89A6100 00008214
	v_mfma_f32_16x16x16_bf16 v[52:55], a[144:145], a[16:17], 0 // 000000008F08: D3E10034 1A022190
	buffer_atomic_add_f32 v140, v7, s[32:35], 0 offen offset:256// 000000008F10: E1341100 80088C07
	v_mfma_f32_16x16x16_bf16 v[52:55], a[146:147], a[18:19], v[52:55]// 000000008F18: D3E10034 1CD22592
	ds_write_b64 v20, v[132:133] offset:25344                  // 000000008F20: D89A6300 00008414
	v_mfma_f32_16x16x16_bf16 v[52:55], a[148:149], a[20:21], v[52:55]// 000000008F28: D3E10034 1CD22994
	v_mfma_f32_16x16x16_bf16 v[52:55], a[150:151], a[22:23], v[52:55]// 000000008F30: D3E10034 1CD22D96
	ds_write_b64 v20, v[134:135] offset:25856                  // 000000008F38: D89A6500 00008614
	v_mfma_f32_16x16x16_bf16 v[52:55], a[152:153], a[24:25], v[52:55]// 000000008F40: D3E10034 1CD23198
	buffer_atomic_add_f32 v141, v8, s[32:35], 0 offen offset:256// 000000008F48: E1341100 80088D08
	v_mfma_f32_16x16x16_bf16 v[52:55], a[154:155], a[26:27], v[52:55]// 000000008F50: D3E10034 1CD2359A
	ds_read_b128 v[108:111], v12 offset:13056                  // 000000008F58: D9FE3300 6C00000C
	ds_write_b32 v11, v32                                      // 000000008F60: D81A0000 0000200B
	v_mfma_f32_16x16x16_bf16 v[52:55], a[156:157], a[28:29], v[52:55]// 000000008F68: D3E10034 1CD2399C
	v_mfma_f32_16x16x16_bf16 v[52:55], a[158:159], a[30:31], v[52:55]// 000000008F70: D3E10034 1CD23D9E
	v_mfma_f32_16x16x16_bf16 v[56:59], a[144:145], a[32:33], 0 // 000000008F78: D3E10038 1A024190
	ds_read_b128 v[112:115], v12 offset:13568                  // 000000008F80: D9FE3500 7000000C
	ds_write_b32 v11, v33 offset:1056                          // 000000008F88: D81A0420 0000210B
	v_mfma_f32_16x16x16_bf16 v[56:59], a[146:147], a[34:35], v[56:59]// 000000008F90: D3E10038 1CE24592
	buffer_atomic_add_f32 v142, v7, s[32:35], 0 offen offset:384// 000000008F98: E1341180 80088E07
	v_mfma_f32_16x16x16_bf16 v[56:59], a[148:149], a[36:37], v[56:59]// 000000008FA0: D3E10038 1CE24994
	v_mfma_f32_16x16x16_bf16 v[56:59], a[150:151], a[38:39], v[56:59]// 000000008FA8: D3E10038 1CE24D96
	ds_read_b128 v[116:119], v12 offset:15232                  // 000000008FB0: D9FE3B80 7400000C
	ds_write_b32 v11, v34 offset:128                           // 000000008FB8: D81A0080 0000220B
	v_mfma_f32_16x16x16_bf16 v[56:59], a[152:153], a[40:41], v[56:59]// 000000008FC0: D3E10038 1CE25198
	v_mfma_f32_16x16x16_bf16 v[56:59], a[154:155], a[42:43], v[56:59]// 000000008FC8: D3E10038 1CE2559A
	buffer_atomic_add_f32 v143, v8, s[32:35], 0 offen offset:384// 000000008FD0: E1341180 80088F08
	v_mfma_f32_16x16x16_bf16 v[56:59], a[156:157], a[44:45], v[56:59]// 000000008FD8: D3E10038 1CE2599C
	ds_read_b128 v[120:123], v12 offset:15744                  // 000000008FE0: D9FE3D80 7800000C
	ds_write_b32 v11, v35 offset:1184                          // 000000008FE8: D81A04A0 0000230B
	v_mfma_f32_16x16x16_bf16 v[56:59], a[158:159], a[46:47], v[56:59]// 000000008FF0: D3E10038 1CE25D9E
	s_cmp_lt_i32 s99, 0xc0                                     // 000000008FF8: BF04FF63 000000C0
	s_cbranch_scc0 label_14E2                                  // 000000009000: BF84004D
	s_cmp_le_i32 s99, 64                                       // 000000009004: BF05C063
	s_cbranch_scc1 label_1499                                  // 000000009008: BF850007
	s_cmp_le_i32 s99, 0x80                                     // 00000000900C: BF05FF63 00000080
	s_cbranch_scc1 label_14B1                                  // 000000009014: BF850017
	s_cmp_lt_i32 s99, 0xc0                                     // 000000009018: BF04FF63 000000C0
	s_cbranch_scc1 label_14C9                                  // 000000009020: BF85002C
	s_branch label_14E2                                        // 000000009024: BF820044

0000000000009028 <label_1499>:
	s_mov_b32 s60, 0                                           // 000000009028: BEBC0080
	v_and_b32_e32 v28, 15, v0                                  // 00000000902C: 2638008F
	v_add_u32_e64 v28, v28, s60                                // 000000009030: D134001C 0000791C
	v_mul_i32_i24_e64 v29, s46, 16                             // 000000009038: D106001D 0001202E
	v_add_u32_e32 v28, v28, v29                                // 000000009040: 68383B1C
	v_cmp_lt_u32_e64 s[60:61], v28, s99                        // 000000009044: D0C9003C 0000C71C
	s_nop 1                                                    // 00000000904C: BF800001
	v_cndmask_b32_e64 v48, v151, v48, s[60:61]                 // 000000009050: D1000030 00F26197
	v_cndmask_b32_e64 v49, v151, v49, s[60:61]                 // 000000009058: D1000031 00F26397
	v_cndmask_b32_e64 v50, v151, v50, s[60:61]                 // 000000009060: D1000032 00F26597
	v_cndmask_b32_e64 v51, v151, v51, s[60:61]                 // 000000009068: D1000033 00F26797
	s_branch label_14C4                                        // 000000009070: BF820013

0000000000009074 <label_14B1>:
	s_mov_b32 s60, 64                                          // 000000009074: BEBC00C0
	v_and_b32_e32 v28, 15, v0                                  // 000000009078: 2638008F
	v_add_u32_e64 v28, v28, s60                                // 00000000907C: D134001C 0000791C
	v_mul_i32_i24_e64 v29, s46, 16                             // 000000009084: D106001D 0001202E
	v_add_u32_e32 v28, v28, v29                                // 00000000908C: 68383B1C
	v_cmp_lt_u32_e64 s[60:61], v28, s99                        // 000000009090: D0C9003C 0000C71C
	s_nop 1                                                    // 000000009098: BF800001
	v_cndmask_b32_e64 v52, v151, v52, s[60:61]                 // 00000000909C: D1000034 00F26997
	v_cndmask_b32_e64 v53, v151, v53, s[60:61]                 // 0000000090A4: D1000035 00F26B97
	v_cndmask_b32_e64 v54, v151, v54, s[60:61]                 // 0000000090AC: D1000036 00F26D97
	v_cndmask_b32_e64 v55, v151, v55, s[60:61]                 // 0000000090B4: D1000037 00F26F97
	s_branch label_14DD                                        // 0000000090BC: BF820019

00000000000090c0 <label_14C4>:
	v_mov_b32_e32 v52, v151                                    // 0000000090C0: 7E680397
	v_mov_b32_e32 v53, v151                                    // 0000000090C4: 7E6A0397
	v_mov_b32_e32 v54, v151                                    // 0000000090C8: 7E6C0397
	v_mov_b32_e32 v55, v151                                    // 0000000090CC: 7E6E0397
	s_branch label_14DD                                        // 0000000090D0: BF820014

00000000000090d4 <label_14C9>:
	s_mov_b32 s60, 0x80                                        // 0000000090D4: BEBC00FF 00000080
	v_and_b32_e32 v28, 15, v0                                  // 0000000090DC: 2638008F
	v_add_u32_e64 v28, v28, s60                                // 0000000090E0: D134001C 0000791C
	v_mul_i32_i24_e64 v29, s46, 16                             // 0000000090E8: D106001D 0001202E
	v_add_u32_e32 v28, v28, v29                                // 0000000090F0: 68383B1C
	v_cmp_lt_u32_e64 s[60:61], v28, s99                        // 0000000090F4: D0C9003C 0000C71C
	s_nop 1                                                    // 0000000090FC: BF800001
	v_cndmask_b32_e64 v56, v151, v56, s[60:61]                 // 000000009100: D1000038 00F27197
	v_cndmask_b32_e64 v57, v151, v57, s[60:61]                 // 000000009108: D1000039 00F27397
	v_cndmask_b32_e64 v58, v151, v58, s[60:61]                 // 000000009110: D100003A 00F27597
	v_cndmask_b32_e64 v59, v151, v59, s[60:61]                 // 000000009118: D100003B 00F27797
	s_branch label_14E2                                        // 000000009120: BF820005

0000000000009124 <label_14DD>:
	v_mov_b32_e32 v56, v151                                    // 000000009124: 7E700397
	v_mov_b32_e32 v57, v151                                    // 000000009128: 7E720397
	v_mov_b32_e32 v58, v151                                    // 00000000912C: 7E740397
	v_mov_b32_e32 v59, v151                                    // 000000009130: 7E760397
	s_branch label_14E2                                        // 000000009134: BF820000

0000000000009138 <label_14E2>:
	s_waitcnt lgkmcnt(8)                                       // 000000009138: BF8CC87F
	s_barrier                                                  // 00000000913C: BF8A0000
	v_mfma_f32_16x16x16_bf16 v[72:75], v[92:93], a[96:97], 0   // 000000009140: D3E10048 1202C15C
	v_fma_f32 v48, v48, s57, -v124                             // 000000009148: D1CB0030 85F07330
	v_fma_f32 v49, v49, s57, -v125                             // 000000009150: D1CB0031 85F47331
	v_fma_f32 v50, v50, s57, -v126                             // 000000009158: D1CB0032 85F87332
	v_mfma_f32_16x16x16_bf16 v[72:75], v[94:95], a[98:99], v[72:75]// 000000009160: D3E10048 1522C55E
	ds_read_b128 a[144:147], v12 offset:4352                   // 000000009168: DBFE1100 9000000C
	ds_read_b128 a[148:151], v12 offset:4864                   // 000000009170: DBFE1300 9400000C
	v_mfma_f32_16x16x16_bf16 v[72:75], v[96:97], a[100:101], v[72:75]// 000000009178: D3E10048 1522C960
	v_fma_f32 v51, v51, s57, -v127                             // 000000009180: D1CB0033 85FC7333
	v_fma_f32 v52, v52, s57, -v124                             // 000000009188: D1CB0034 85F07334
	v_fma_f32 v53, v53, s57, -v125                             // 000000009190: D1CB0035 85F47335
	v_mfma_f32_16x16x16_bf16 v[72:75], v[98:99], a[102:103], v[72:75]// 000000009198: D3E10048 1522CD62
	v_fma_f32 v54, v54, s57, -v126                             // 0000000091A0: D1CB0036 85F87336
	v_fma_f32 v55, v55, s57, -v127                             // 0000000091A8: D1CB0037 85FC7337
	v_fma_f32 v56, v56, s57, -v124                             // 0000000091B0: D1CB0038 85F07338
	v_mfma_f32_16x16x16_bf16 v[72:75], v[100:101], a[104:105], v[72:75]// 0000000091B8: D3E10048 1522D164
	v_fma_f32 v57, v57, s57, -v125                             // 0000000091C0: D1CB0039 85F47339
	v_fma_f32 v58, v58, s57, -v126                             // 0000000091C8: D1CB003A 85F8733A
	v_fma_f32 v59, v59, s57, -v127                             // 0000000091D0: D1CB003B 85FC733B
	v_mfma_f32_16x16x16_bf16 v[72:75], v[102:103], a[106:107], v[72:75]// 0000000091D8: D3E10048 1522D566
	ds_read_b128 a[152:155], v12 offset:6528                   // 0000000091E0: DBFE1980 9800000C
	ds_read_b128 a[156:159], v12 offset:7040                   // 0000000091E8: DBFE1B80 9C00000C
	v_mfma_f32_16x16x16_bf16 v[72:75], v[104:105], a[108:109], v[72:75]// 0000000091F0: D3E10048 1522D968
	v_exp_f32_e32 v48, v48                                     // 0000000091F8: 7E604130
	v_mfma_f32_16x16x16_bf16 v[72:75], v[106:107], a[110:111], v[72:75]// 0000000091FC: D3E10048 1522DD6A
	v_exp_f32_e32 v49, v49                                     // 000000009204: 7E624131
	v_mfma_f32_16x16x16_bf16 v[76:79], v[92:93], a[112:113], 0 // 000000009208: D3E1004C 1202E15C
	v_exp_f32_e32 v50, v50                                     // 000000009210: 7E644132
	v_mfma_f32_16x16x16_bf16 v[76:79], v[94:95], a[114:115], v[76:79]// 000000009214: D3E1004C 1532E55E
	ds_read_b64 v[136:137], v19 offset:24320                   // 00000000921C: D8EC5F00 88000013
	ds_read_b64 v[138:139], v19 offset:26368                   // 000000009224: D8EC6700 8A000013
	v_mfma_f32_16x16x16_bf16 v[76:79], v[96:97], a[116:117], v[76:79]// 00000000922C: D3E1004C 1532E960
	v_exp_f32_e32 v51, v51                                     // 000000009234: 7E664133
	v_mfma_f32_16x16x16_bf16 v[76:79], v[98:99], a[118:119], v[76:79]// 000000009238: D3E1004C 1532ED62
	ds_read_b64 v[140:141], v19 offset:28416                   // 000000009240: D8EC6F00 8C000013
	ds_read_b64 v[142:143], v19 offset:30464                   // 000000009248: D8EC7700 8E000013
	v_mfma_f32_16x16x16_bf16 v[76:79], v[100:101], a[120:121], v[76:79]// 000000009250: D3E1004C 1532F164
	v_exp_f32_e32 v52, v52                                     // 000000009258: 7E684134
	v_mfma_f32_16x16x16_bf16 v[76:79], v[102:103], a[122:123], v[76:79]// 00000000925C: D3E1004C 1532F566
	v_exp_f32_e32 v53, v53                                     // 000000009264: 7E6A4135
	v_mfma_f32_16x16x16_bf16 v[76:79], v[104:105], a[124:125], v[76:79]// 000000009268: D3E1004C 1532F968
	v_exp_f32_e32 v54, v54                                     // 000000009270: 7E6C4136
	v_mfma_f32_16x16x16_bf16 v[76:79], v[106:107], a[126:127], v[76:79]// 000000009274: D3E1004C 1532FD6A
	v_exp_f32_e32 v55, v55                                     // 00000000927C: 7E6E4137
	v_mfma_f32_16x16x16_bf16 v[80:83], v[92:93], a[128:129], 0 // 000000009280: D3E10050 1203015C
	v_exp_f32_e32 v56, v56                                     // 000000009288: 7E704138
	v_mfma_f32_16x16x16_bf16 v[80:83], v[94:95], a[130:131], v[80:83]// 00000000928C: D3E10050 1543055E
	v_exp_f32_e32 v57, v57                                     // 000000009294: 7E724139
	v_mfma_f32_16x16x16_bf16 v[80:83], v[96:97], a[132:133], v[80:83]// 000000009298: D3E10050 15430960
	v_exp_f32_e32 v58, v58                                     // 0000000092A0: 7E74413A
	v_mfma_f32_16x16x16_bf16 v[80:83], v[98:99], a[134:135], v[80:83]// 0000000092A4: D3E10050 15430D62
	v_exp_f32_e32 v59, v59                                     // 0000000092AC: 7E76413B
	v_mfma_f32_16x16x16_bf16 v[80:83], v[100:101], a[136:137], v[80:83]// 0000000092B0: D3E10050 15431164
	v_cmp_u_f32_e64 s[74:75], v48, v48                         // 0000000092B8: D048004A 00026130
	v_bfe_u32 v248, v48, 16, 1                                 // 0000000092C0: D1C800F8 02052130
	v_add3_u32 v248, v48, v248, v251                           // 0000000092C8: D1FF00F8 07EFF130
	v_cndmask_b32_e64 v28, v248, v250, s[74:75]                // 0000000092D0: D100001C 012BF5F8
	v_lshrrev_b32_e32 v28, 16, v28                             // 0000000092D8: 20383890
	v_cmp_u_f32_e64 s[74:75], v49, v49                         // 0000000092DC: D048004A 00026331
	v_bfe_u32 v248, v49, 16, 1                                 // 0000000092E4: D1C800F8 02052131
	v_add3_u32 v248, v49, v248, v251                           // 0000000092EC: D1FF00F8 07EFF131
	v_cndmask_b32_e64 v29, v248, v250, s[74:75]                // 0000000092F4: D100001D 012BF5F8
	v_and_or_b32 v144, v29, v249, v28                          // 0000000092FC: D2010090 0473F31D
	v_cmp_u_f32_e64 s[74:75], v50, v50                         // 000000009304: D048004A 00026532
	v_bfe_u32 v248, v50, 16, 1                                 // 00000000930C: D1C800F8 02052132
	v_add3_u32 v248, v50, v248, v251                           // 000000009314: D1FF00F8 07EFF132
	v_cndmask_b32_e64 v28, v248, v250, s[74:75]                // 00000000931C: D100001C 012BF5F8
	v_lshrrev_b32_e32 v28, 16, v28                             // 000000009324: 20383890
	v_cmp_u_f32_e64 s[74:75], v51, v51                         // 000000009328: D048004A 00026733
	v_bfe_u32 v248, v51, 16, 1                                 // 000000009330: D1C800F8 02052133
	v_add3_u32 v248, v51, v248, v251                           // 000000009338: D1FF00F8 07EFF133
	v_cndmask_b32_e64 v29, v248, v250, s[74:75]                // 000000009340: D100001D 012BF5F8
	v_and_or_b32 v145, v29, v249, v28                          // 000000009348: D2010091 0473F31D
	v_cmp_u_f32_e64 s[74:75], v52, v52                         // 000000009350: D048004A 00026934
	v_bfe_u32 v248, v52, 16, 1                                 // 000000009358: D1C800F8 02052134
	v_add3_u32 v248, v52, v248, v251                           // 000000009360: D1FF00F8 07EFF134
	v_cndmask_b32_e64 v28, v248, v250, s[74:75]                // 000000009368: D100001C 012BF5F8
	v_lshrrev_b32_e32 v28, 16, v28                             // 000000009370: 20383890
	v_cmp_u_f32_e64 s[74:75], v53, v53                         // 000000009374: D048004A 00026B35
	v_bfe_u32 v248, v53, 16, 1                                 // 00000000937C: D1C800F8 02052135
	v_add3_u32 v248, v53, v248, v251                           // 000000009384: D1FF00F8 07EFF135
	v_cndmask_b32_e64 v29, v248, v250, s[74:75]                // 00000000938C: D100001D 012BF5F8
	v_and_or_b32 v146, v29, v249, v28                          // 000000009394: D2010092 0473F31D
	v_mfma_f32_16x16x16_bf16 v[80:83], v[102:103], a[138:139], v[80:83]// 00000000939C: D3E10050 15431566
	v_cmp_u_f32_e64 s[74:75], v54, v54                         // 0000000093A4: D048004A 00026D36
	v_bfe_u32 v248, v54, 16, 1                                 // 0000000093AC: D1C800F8 02052136
	v_add3_u32 v248, v54, v248, v251                           // 0000000093B4: D1FF00F8 07EFF136
	v_cndmask_b32_e64 v28, v248, v250, s[74:75]                // 0000000093BC: D100001C 012BF5F8
	v_lshrrev_b32_e32 v28, 16, v28                             // 0000000093C4: 20383890
	v_cmp_u_f32_e64 s[74:75], v55, v55                         // 0000000093C8: D048004A 00026F37
	v_bfe_u32 v248, v55, 16, 1                                 // 0000000093D0: D1C800F8 02052137
	v_add3_u32 v248, v55, v248, v251                           // 0000000093D8: D1FF00F8 07EFF137
	v_cndmask_b32_e64 v29, v248, v250, s[74:75]                // 0000000093E0: D100001D 012BF5F8
	v_and_or_b32 v147, v29, v249, v28                          // 0000000093E8: D2010093 0473F31D
	v_cmp_u_f32_e64 s[74:75], v56, v56                         // 0000000093F0: D048004A 00027138
	v_bfe_u32 v248, v56, 16, 1                                 // 0000000093F8: D1C800F8 02052138
	v_add3_u32 v248, v56, v248, v251                           // 000000009400: D1FF00F8 07EFF138
	v_cndmask_b32_e64 v28, v248, v250, s[74:75]                // 000000009408: D100001C 012BF5F8
	v_lshrrev_b32_e32 v28, 16, v28                             // 000000009410: 20383890
	v_cmp_u_f32_e64 s[74:75], v57, v57                         // 000000009414: D048004A 00027339
	v_bfe_u32 v248, v57, 16, 1                                 // 00000000941C: D1C800F8 02052139
	v_add3_u32 v248, v57, v248, v251                           // 000000009424: D1FF00F8 07EFF139
	v_cndmask_b32_e64 v29, v248, v250, s[74:75]                // 00000000942C: D100001D 012BF5F8
	v_and_or_b32 v148, v29, v249, v28                          // 000000009434: D2010094 0473F31D
	v_cmp_u_f32_e64 s[74:75], v58, v58                         // 00000000943C: D048004A 0002753A
	v_bfe_u32 v248, v58, 16, 1                                 // 000000009444: D1C800F8 0205213A
	v_add3_u32 v248, v58, v248, v251                           // 00000000944C: D1FF00F8 07EFF13A
	v_cndmask_b32_e64 v28, v248, v250, s[74:75]                // 000000009454: D100001C 012BF5F8
	v_lshrrev_b32_e32 v28, 16, v28                             // 00000000945C: 20383890
	v_cmp_u_f32_e64 s[74:75], v59, v59                         // 000000009460: D048004A 0002773B
	v_bfe_u32 v248, v59, 16, 1                                 // 000000009468: D1C800F8 0205213B
	v_add3_u32 v248, v59, v248, v251                           // 000000009470: D1FF00F8 07EFF13B
	v_cndmask_b32_e64 v29, v248, v250, s[74:75]                // 000000009478: D100001D 012BF5F8
	v_and_or_b32 v149, v29, v249, v28                          // 000000009480: D2010095 0473F31D
	v_mfma_f32_16x16x16_bf16 v[80:83], v[104:105], a[140:141], v[80:83]// 000000009488: D3E10050 15431968
	v_add_u32_e32 v7, s66, v7                                  // 000000009490: 680E0E42
	v_add_u32_e32 v8, s66, v8                                  // 000000009494: 68101042
	v_mfma_f32_16x16x16_bf16 v[80:83], v[106:107], a[142:143], v[80:83]// 000000009498: D3E10050 15431D6A
	s_waitcnt lgkmcnt(0)                                       // 0000000094A0: BF8CC07F
	s_barrier                                                  // 0000000094A4: BF8A0000
	v_mfma_f32_16x16x16_bf16 v[152:155], v[108:109], v[144:145], v[152:155]// 0000000094A8: D3E10098 0663216C
	v_subrev_f32_dpp v72, v150, v72 quad_perm:[0,0,0,0] row_mask:0xf bank_mask:0xf// 0000000094B0: 069090FA FF000096
	v_subrev_f32_dpp v73, v150, v73 quad_perm:[1,1,1,1] row_mask:0xf bank_mask:0xf// 0000000094B8: 069292FA FF005596
	v_subrev_f32_dpp v74, v150, v74 quad_perm:[2,2,2,2] row_mask:0xf bank_mask:0xf// 0000000094C0: 069494FA FF00AA96
	v_mfma_f32_16x16x16_bf16 v[156:159], v[110:111], v[144:145], v[156:159]// 0000000094C8: D3E1009C 0673216E
	v_subrev_f32_dpp v75, v150, v75 quad_perm:[3,3,3,3] row_mask:0xf bank_mask:0xf// 0000000094D0: 069696FA FF00FF96
	v_subrev_f32_dpp v76, v150, v76 quad_perm:[0,0,0,0] row_mask:0xf bank_mask:0xf// 0000000094D8: 069898FA FF000096
	v_subrev_f32_dpp v77, v150, v77 quad_perm:[1,1,1,1] row_mask:0xf bank_mask:0xf// 0000000094E0: 069A9AFA FF005596
	v_mfma_f32_16x16x16_bf16 v[160:163], v[112:113], v[144:145], v[160:163]// 0000000094E8: D3E100A0 06832170
	v_mul_f32_e32 v72, v48, v72                                // 0000000094F0: 0A909130
	v_mul_f32_e32 v73, v49, v73                                // 0000000094F4: 0A929331
	v_mul_f32_e32 v74, v50, v74                                // 0000000094F8: 0A949532
	v_mfma_f32_16x16x16_bf16 v[164:167], v[114:115], v[144:145], v[164:167]// 0000000094FC: D3E100A4 06932172
	v_mul_f32_e32 v75, v51, v75                                // 000000009504: 0A969733
	v_mul_f32_e32 v76, v52, v76                                // 000000009508: 0A989934
	v_mul_f32_e32 v77, v53, v77                                // 00000000950C: 0A9A9B35
	v_mfma_f32_16x16x16_bf16 v[168:171], v[116:117], v[144:145], v[168:171]// 000000009510: D3E100A8 06A32174
	v_cmp_u_f32_e64 s[74:75], v72, v72                         // 000000009518: D048004A 00029148
	v_bfe_u32 v248, v72, 16, 1                                 // 000000009520: D1C800F8 02052148
	v_add3_u32 v248, v72, v248, v251                           // 000000009528: D1FF00F8 07EFF148
	v_cndmask_b32_e64 v28, v248, v250, s[74:75]                // 000000009530: D100001C 012BF5F8
	v_lshrrev_b32_e32 v28, 16, v28                             // 000000009538: 20383890
	v_cmp_u_f32_e64 s[74:75], v73, v73                         // 00000000953C: D048004A 00029349
	v_bfe_u32 v248, v73, 16, 1                                 // 000000009544: D1C800F8 02052149
	v_add3_u32 v248, v73, v248, v251                           // 00000000954C: D1FF00F8 07EFF149
	v_cndmask_b32_e64 v29, v248, v250, s[74:75]                // 000000009554: D100001D 012BF5F8
	v_and_or_b32 v72, v29, v249, v28                           // 00000000955C: D2010048 0473F31D
	v_cmp_u_f32_e64 s[74:75], v74, v74                         // 000000009564: D048004A 0002954A
	v_bfe_u32 v248, v74, 16, 1                                 // 00000000956C: D1C800F8 0205214A
	v_add3_u32 v248, v74, v248, v251                           // 000000009574: D1FF00F8 07EFF14A
	v_cndmask_b32_e64 v28, v248, v250, s[74:75]                // 00000000957C: D100001C 012BF5F8
	v_lshrrev_b32_e32 v28, 16, v28                             // 000000009584: 20383890
	v_cmp_u_f32_e64 s[74:75], v75, v75                         // 000000009588: D048004A 0002974B
	v_bfe_u32 v248, v75, 16, 1                                 // 000000009590: D1C800F8 0205214B
	v_add3_u32 v248, v75, v248, v251                           // 000000009598: D1FF00F8 07EFF14B
	v_cndmask_b32_e64 v29, v248, v250, s[74:75]                // 0000000095A0: D100001D 012BF5F8
	v_and_or_b32 v73, v29, v249, v28                           // 0000000095A8: D2010049 0473F31D
	v_cmp_u_f32_e64 s[74:75], v76, v76                         // 0000000095B0: D048004A 0002994C
	v_bfe_u32 v248, v76, 16, 1                                 // 0000000095B8: D1C800F8 0205214C
	v_add3_u32 v248, v76, v248, v251                           // 0000000095C0: D1FF00F8 07EFF14C
	v_cndmask_b32_e64 v28, v248, v250, s[74:75]                // 0000000095C8: D100001C 012BF5F8
	v_lshrrev_b32_e32 v28, 16, v28                             // 0000000095D0: 20383890
	v_cmp_u_f32_e64 s[74:75], v77, v77                         // 0000000095D4: D048004A 00029B4D
	v_bfe_u32 v248, v77, 16, 1                                 // 0000000095DC: D1C800F8 0205214D
	v_add3_u32 v248, v77, v248, v251                           // 0000000095E4: D1FF00F8 07EFF14D
	v_cndmask_b32_e64 v29, v248, v250, s[74:75]                // 0000000095EC: D100001D 012BF5F8
	v_and_or_b32 v74, v29, v249, v28                           // 0000000095F4: D201004A 0473F31D
	v_mfma_f32_16x16x16_bf16 v[172:175], v[118:119], v[144:145], v[172:175]// 0000000095FC: D3E100AC 06B32176
	v_mov_b32_dpp v16, v72 quad_perm:[1,0,3,2] row_mask:0xf bank_mask:0xf// 000000009604: 7E2002FA FF00B148
	v_perm_b32 v48, v16, v72, v15                              // 00000000960C: D1ED0030 043E9110
	v_mov_b32_dpp v16, v73 quad_perm:[1,0,3,2] row_mask:0xf bank_mask:0xf// 000000009614: 7E2002FA FF00B149
	v_mfma_f32_16x16x16_bf16 v[176:179], v[120:121], v[144:145], v[176:179]// 00000000961C: D3E100B0 06C32178
	ds_write_b32 v18, v48 offset:17408                         // 000000009624: D81A4400 00003012
	v_mfma_f32_16x16x16_bf16 v[180:183], v[122:123], v[144:145], v[180:183]// 00000000962C: D3E100B4 06D3217A
	v_perm_b32 v49, v16, v73, v15                              // 000000009634: D1ED0031 043E9310
	v_mov_b32_dpp v16, v74 quad_perm:[1,0,3,2] row_mask:0xf bank_mask:0xf// 00000000963C: 7E2002FA FF00B14A
	v_perm_b32 v50, v16, v74, v15                              // 000000009644: D1ED0032 043E9510
	v_mfma_f32_16x16x16_bf16 v[184:187], v[108:109], v[146:147], v[184:187]// 00000000964C: D3E100B8 06E3256C
	ds_write_b32 v18, v49 offset:17952                         // 000000009654: D81A4620 00003112
	v_mfma_f32_16x16x16_bf16 v[188:191], v[110:111], v[146:147], v[188:191]// 00000000965C: D3E100BC 06F3256E
	v_subrev_f32_dpp v78, v150, v78 quad_perm:[2,2,2,2] row_mask:0xf bank_mask:0xf// 000000009664: 069C9CFA FF00AA96
	v_subrev_f32_dpp v79, v150, v79 quad_perm:[3,3,3,3] row_mask:0xf bank_mask:0xf// 00000000966C: 069E9EFA FF00FF96
	v_subrev_f32_dpp v80, v150, v80 quad_perm:[0,0,0,0] row_mask:0xf bank_mask:0xf// 000000009674: 06A0A0FA FF000096
	v_mfma_f32_16x16x16_bf16 v[192:195], v[112:113], v[146:147], v[192:195]// 00000000967C: D3E100C0 07032570
	ds_write_b32 v18, v50 offset:19712                         // 000000009684: D81A4D00 00003212
	v_mfma_f32_16x16x16_bf16 v[196:199], v[114:115], v[146:147], v[196:199]// 00000000968C: D3E100C4 07132572
	v_subrev_f32_dpp v81, v150, v81 quad_perm:[1,1,1,1] row_mask:0xf bank_mask:0xf// 000000009694: 06A2A2FA FF005596
	v_subrev_f32_dpp v82, v150, v82 quad_perm:[2,2,2,2] row_mask:0xf bank_mask:0xf// 00000000969C: 06A4A4FA FF00AA96
	v_subrev_f32_dpp v83, v150, v83 quad_perm:[3,3,3,3] row_mask:0xf bank_mask:0xf// 0000000096A4: 06A6A6FA FF00FF96
	v_mfma_f32_16x16x16_bf16 v[200:203], v[116:117], v[146:147], v[200:203]// 0000000096AC: D3E100C8 07232574
	v_mul_f32_e32 v78, v54, v78                                // 0000000096B4: 0A9C9D36
	v_mul_f32_e32 v79, v55, v79                                // 0000000096B8: 0A9E9F37
	v_mul_f32_e32 v80, v56, v80                                // 0000000096BC: 0AA0A138
	v_mfma_f32_16x16x16_bf16 v[204:207], v[118:119], v[146:147], v[204:207]// 0000000096C0: D3E100CC 07332576
	v_mul_f32_e32 v81, v57, v81                                // 0000000096C8: 0AA2A339
	v_mul_f32_e32 v82, v58, v82                                // 0000000096CC: 0AA4A53A
	v_mul_f32_e32 v83, v59, v83                                // 0000000096D0: 0AA6A73B
	v_mfma_f32_16x16x16_bf16 v[208:211], v[120:121], v[146:147], v[208:211]// 0000000096D4: D3E100D0 07432578
	v_cmp_u_f32_e64 s[74:75], v78, v78                         // 0000000096DC: D048004A 00029D4E
	v_bfe_u32 v248, v78, 16, 1                                 // 0000000096E4: D1C800F8 0205214E
	v_add3_u32 v248, v78, v248, v251                           // 0000000096EC: D1FF00F8 07EFF14E
	v_cndmask_b32_e64 v28, v248, v250, s[74:75]                // 0000000096F4: D100001C 012BF5F8
	v_lshrrev_b32_e32 v28, 16, v28                             // 0000000096FC: 20383890
	v_cmp_u_f32_e64 s[74:75], v79, v79                         // 000000009700: D048004A 00029F4F
	v_bfe_u32 v248, v79, 16, 1                                 // 000000009708: D1C800F8 0205214F
	v_add3_u32 v248, v79, v248, v251                           // 000000009710: D1FF00F8 07EFF14F
	v_cndmask_b32_e64 v29, v248, v250, s[74:75]                // 000000009718: D100001D 012BF5F8
	v_and_or_b32 v75, v29, v249, v28                           // 000000009720: D201004B 0473F31D
	v_cmp_u_f32_e64 s[74:75], v80, v80                         // 000000009728: D048004A 0002A150
	v_bfe_u32 v248, v80, 16, 1                                 // 000000009730: D1C800F8 02052150
	v_add3_u32 v248, v80, v248, v251                           // 000000009738: D1FF00F8 07EFF150
	v_cndmask_b32_e64 v28, v248, v250, s[74:75]                // 000000009740: D100001C 012BF5F8
	v_lshrrev_b32_e32 v28, 16, v28                             // 000000009748: 20383890
	v_cmp_u_f32_e64 s[74:75], v81, v81                         // 00000000974C: D048004A 0002A351
	v_bfe_u32 v248, v81, 16, 1                                 // 000000009754: D1C800F8 02052151
	v_add3_u32 v248, v81, v248, v251                           // 00000000975C: D1FF00F8 07EFF151
	v_cndmask_b32_e64 v29, v248, v250, s[74:75]                // 000000009764: D100001D 012BF5F8
	v_and_or_b32 v76, v29, v249, v28                           // 00000000976C: D201004C 0473F31D
	v_cmp_u_f32_e64 s[74:75], v82, v82                         // 000000009774: D048004A 0002A552
	v_bfe_u32 v248, v82, 16, 1                                 // 00000000977C: D1C800F8 02052152
	v_add3_u32 v248, v82, v248, v251                           // 000000009784: D1FF00F8 07EFF152
	v_cndmask_b32_e64 v28, v248, v250, s[74:75]                // 00000000978C: D100001C 012BF5F8
	v_lshrrev_b32_e32 v28, 16, v28                             // 000000009794: 20383890
	v_cmp_u_f32_e64 s[74:75], v83, v83                         // 000000009798: D048004A 0002A753
	v_bfe_u32 v248, v83, 16, 1                                 // 0000000097A0: D1C800F8 02052153
	v_add3_u32 v248, v83, v248, v251                           // 0000000097A8: D1FF00F8 07EFF153
	v_cndmask_b32_e64 v29, v248, v250, s[74:75]                // 0000000097B0: D100001D 012BF5F8
	v_and_or_b32 v77, v29, v249, v28                           // 0000000097B8: D201004D 0473F31D
	v_mfma_f32_16x16x16_bf16 v[212:215], v[122:123], v[146:147], v[212:215]// 0000000097C0: D3E100D4 0753257A
	v_mov_b32_dpp v16, v75 quad_perm:[1,0,3,2] row_mask:0xf bank_mask:0xf// 0000000097C8: 7E2002FA FF00B14B
	v_perm_b32 v51, v16, v75, v15                              // 0000000097D0: D1ED0033 043E9710
	v_mov_b32_dpp v16, v76 quad_perm:[1,0,3,2] row_mask:0xf bank_mask:0xf// 0000000097D8: 7E2002FA FF00B14C
	v_mfma_f32_16x16x16_bf16 v[216:219], v[108:109], v[148:149], v[216:219]// 0000000097E0: D3E100D8 0763296C
	ds_write_b32 v18, v51 offset:20256                         // 0000000097E8: D81A4F20 00003312
	v_mfma_f32_16x16x16_bf16 v[220:223], v[110:111], v[148:149], v[220:223]// 0000000097F0: D3E100DC 0773296E
	v_perm_b32 v52, v16, v76, v15                              // 0000000097F8: D1ED0034 043E9910
	v_mov_b32_dpp v16, v77 quad_perm:[1,0,3,2] row_mask:0xf bank_mask:0xf// 000000009800: 7E2002FA FF00B14D
	v_perm_b32 v53, v16, v77, v15                              // 000000009808: D1ED0035 043E9B10
	v_mfma_f32_16x16x16_bf16 v[224:227], v[112:113], v[148:149], v[224:227]// 000000009810: D3E100E0 07832970
	ds_write_b32 v18, v52 offset:22016                         // 000000009818: D81A5600 00003412
	ds_write_b32 v18, v53 offset:22560                         // 000000009820: D81A5820 00003512
	v_mfma_f32_16x16x16_bf16 v[228:231], v[114:115], v[148:149], v[228:231]// 000000009828: D3E100E4 07932972
	v_mfma_f32_16x16x16_bf16 v[232:235], v[116:117], v[148:149], v[232:235]// 000000009830: D3E100E8 07A32974
	ds_write_b32 v13, v84 offset:4352                          // 000000009838: D81A1100 0000540D
	ds_write_b32 v13, v85 offset:5408                          // 000000009840: D81A1520 0000550D
	v_mfma_f32_16x16x16_bf16 v[236:239], v[118:119], v[148:149], v[236:239]// 000000009848: D3E100EC 07B32976
	v_mfma_f32_16x16x16_bf16 v[240:243], v[120:121], v[148:149], v[240:243]// 000000009850: D3E100F0 07C32978
	ds_write_b32 v13, v86 offset:4480                          // 000000009858: D81A1180 0000560D
	ds_write_b32 v13, v87 offset:5536                          // 000000009860: D81A15A0 0000570D
	v_mfma_f32_16x16x16_bf16 v[244:247], v[122:123], v[148:149], v[244:247]// 000000009868: D3E100F4 07D3297A
	s_nop 0                                                    // 000000009870: BF800000
	s_nop 0                                                    // 000000009874: BF800000
	;; [unrolled: 1-line block ×3, first 2 shown]
	s_barrier                                                  // 00000000987C: BF8A0000
	v_mfma_f32_16x16x16_bf16 a[160:163], a[144:145], v[72:73], a[160:163]// 000000009880: D3E180A0 0E829190
	ds_read_b32 v124, v21 offset:50688                         // 000000009888: D86CC600 7C000015
	ds_read_b32 v150, v21 offset:50944                         // 000000009890: D86CC700 96000015
	v_mfma_f32_16x16x16_bf16 a[164:167], a[146:147], v[72:73], a[164:167]// 000000009898: D3E180A4 0E929192
	buffer_atomic_add_f32 v136, v7, s[32:35], 0 offen          // 0000000098A0: E1341000 80088807
	v_mfma_f32_16x16x16_bf16 a[168:171], a[148:149], v[72:73], a[168:171]// 0000000098A8: D3E180A8 0EA29194
	s_waitcnt lgkmcnt(6)                                       // 0000000098B0: BF8CC67F
	s_barrier                                                  // 0000000098B4: BF8A0000
	v_mfma_f32_16x16x16_bf16 a[172:175], a[150:151], v[72:73], a[172:175]// 0000000098B8: D3E180AC 0EB29196
	v_mfma_f32_16x16x16_bf16 a[176:179], a[152:153], v[72:73], a[176:179]// 0000000098C0: D3E180B0 0EC29198
	ds_read_b128 v[48:51], v17 offset:17408                    // 0000000098C8: D9FE4400 30000011
	v_mfma_f32_16x16x16_bf16 a[180:183], a[154:155], v[72:73], a[180:183]// 0000000098D0: D3E180B4 0ED2919A
	v_mfma_f32_16x16x16_bf16 a[184:187], a[156:157], v[72:73], a[184:187]// 0000000098D8: D3E180B8 0EE2919C
	ds_read_b128 v[52:55], v17 offset:18560                    // 0000000098E0: D9FE4880 34000011
	v_mfma_f32_16x16x16_bf16 a[188:191], a[158:159], v[72:73], a[188:191]// 0000000098E8: D3E180BC 0EF2919E
	buffer_atomic_add_f32 v137, v8, s[32:35], 0 offen          // 0000000098F0: E1341000 80088908
	v_mfma_f32_16x16x16_bf16 a[192:195], a[144:145], v[74:75], a[192:195]// 0000000098F8: D3E180C0 0F029590
	ds_read_b128 v[56:59], v17 offset:19712                    // 000000009900: D9FE4D00 38000011
	v_mfma_f32_16x16x16_bf16 a[196:199], a[146:147], v[74:75], a[196:199]// 000000009908: D3E180C4 0F129592
	v_mfma_f32_16x16x16_bf16 a[200:203], a[148:149], v[74:75], a[200:203]// 000000009910: D3E180C8 0F229594
	ds_read_b128 v[60:63], v17 offset:20864                    // 000000009918: D9FE5180 3C000011
	v_mfma_f32_16x16x16_bf16 a[204:207], a[150:151], v[74:75], a[204:207]// 000000009920: D3E180CC 0F329596
	v_mfma_f32_16x16x16_bf16 a[208:211], a[152:153], v[74:75], a[208:211]// 000000009928: D3E180D0 0F429598
	ds_read_b128 v[64:67], v17 offset:22016                    // 000000009930: D9FE5600 40000011
	v_mfma_f32_16x16x16_bf16 a[212:215], a[154:155], v[74:75], a[212:215]// 000000009938: D3E180D4 0F52959A
	buffer_atomic_add_f32 v138, v7, s[32:35], 0 offen offset:128// 000000009940: E1341080 80088A07
	v_mfma_f32_16x16x16_bf16 a[216:219], a[156:157], v[74:75], a[216:219]// 000000009948: D3E180D8 0F62959C
	ds_read_b128 v[68:71], v17 offset:23168                    // 000000009950: D9FE5A80 44000011
	v_mfma_f32_16x16x16_bf16 a[220:223], a[158:159], v[74:75], a[220:223]// 000000009958: D3E180DC 0F72959E
	v_mfma_f32_16x16x16_bf16 a[224:227], a[144:145], v[76:77], a[224:227]// 000000009960: D3E180E0 0F829990
	ds_write_b32 v13, v88 offset:13056                         // 000000009968: D81A3300 0000580D
	v_mfma_f32_16x16x16_bf16 a[228:231], a[146:147], v[76:77], a[228:231]// 000000009970: D3E180E4 0F929992
	v_mfma_f32_16x16x16_bf16 a[232:235], a[148:149], v[76:77], a[232:235]// 000000009978: D3E180E8 0FA29994
	ds_write_b32 v13, v89 offset:14112                         // 000000009980: D81A3720 0000590D
	v_mfma_f32_16x16x16_bf16 a[236:239], a[150:151], v[76:77], a[236:239]// 000000009988: D3E180EC 0FB29996
	buffer_atomic_add_f32 v139, v8, s[32:35], 0 offen offset:128// 000000009990: E1341080 80088B08
	v_mfma_f32_16x16x16_bf16 a[240:243], a[152:153], v[76:77], a[240:243]// 000000009998: D3E180F0 0FC29998
	ds_write_b32 v13, v90 offset:13184                         // 0000000099A0: D81A3380 00005A0D
	v_mfma_f32_16x16x16_bf16 a[244:247], a[154:155], v[76:77], a[244:247]// 0000000099A8: D3E180F4 0FD2999A
	v_mfma_f32_16x16x16_bf16 a[248:251], a[156:157], v[76:77], a[248:251]// 0000000099B0: D3E180F8 0FE2999C
	ds_write_b32 v13, v91 offset:14240                         // 0000000099B8: D81A37A0 00005B0D
	v_mfma_f32_16x16x16_bf16 a[252:255], a[158:159], v[76:77], a[252:255]// 0000000099C0: D3E180FC 0FF2999E
	s_waitcnt vmcnt(8) lgkmcnt(4)                              // 0000000099C8: BF8C0478
	s_barrier                                                  // 0000000099CC: BF8A0000
	v_mfma_f32_16x16x16_bf16 v[128:131], v[48:49], a[48:49], 0 // 0000000099D0: D3E10080 12026130
	ds_read_b128 a[144:147], v10                               // 0000000099D8: DBFE0000 9000000A
	v_mov_b32_e32 v32, 0                                       // 0000000099E0: 7E400280
	s_mov_b64 exec, s[88:89]                                   // 0000000099E4: BEFE0158
	buffer_load_dword v32, v1, s[8:11], 0 idxen                // 0000000099E8: E0502000 80022001
	s_mov_b64 exec, s[86:87]                                   // 0000000099F0: BEFE0156
	v_mfma_f32_16x16x16_bf16 v[128:131], v[50:51], a[52:53], v[128:131]// 0000000099F4: D3E10080 16026932
	v_mul_f32_e32 v124, s48, v124                              // 0000000099FC: 0AF8F830
	s_nop 0                                                    // 000000009A00: BF800000
	v_mfma_f32_16x16x16_bf16 v[128:131], v[52:53], a[56:57], v[128:131]// 000000009A04: D3E10080 16027134
	ds_read_b128 a[148:151], v10 offset:512                    // 000000009A0C: DBFE0200 9400000A
	v_mov_b32_e32 v33, 0                                       // 000000009A14: 7E420280
	s_mov_b64 exec, s[88:89]                                   // 000000009A18: BEFE0158
	buffer_load_dword v33, v2, s[8:11], 0 idxen                // 000000009A1C: E0502000 80022102
	s_mov_b64 exec, s[86:87]                                   // 000000009A24: BEFE0156
	v_mfma_f32_16x16x16_bf16 v[128:131], v[54:55], a[60:61], v[128:131]// 000000009A28: D3E10080 16027936
	v_mfma_f32_16x16x16_bf16 v[128:131], v[56:57], a[64:65], v[128:131]// 000000009A30: D3E10080 16028138
	ds_read_b128 a[152:155], v10 offset:2176                   // 000000009A38: DBFE0880 9800000A
	v_mov_b32_e32 v34, 0                                       // 000000009A40: 7E440280
	s_mov_b64 exec, s[88:89]                                   // 000000009A44: BEFE0158
	buffer_load_dword v34, v3, s[8:11], 0 idxen                // 000000009A48: E0502000 80022203
	s_mov_b64 exec, s[86:87]                                   // 000000009A50: BEFE0156
	v_mfma_f32_16x16x16_bf16 v[128:131], v[58:59], a[68:69], v[128:131]// 000000009A54: D3E10080 1602893A
	v_perm_b32 v84, v37, v36, s63                              // 000000009A5C: D1ED0054 00FE4925
	v_perm_b32 v85, v37, v36, s64                              // 000000009A64: D1ED0055 01024925
	v_mfma_f32_16x16x16_bf16 v[128:131], v[60:61], a[72:73], v[128:131]// 000000009A6C: D3E10080 1602913C
	ds_read_b128 a[156:159], v10 offset:2688                   // 000000009A74: DBFE0A80 9C00000A
	v_mov_b32_e32 v35, 0                                       // 000000009A7C: 7E460280
	s_mov_b64 exec, s[88:89]                                   // 000000009A80: BEFE0158
	buffer_load_dword v35, v4, s[8:11], 0 idxen                // 000000009A84: E0502000 80022304
	s_mov_b64 exec, s[86:87]                                   // 000000009A8C: BEFE0156
	v_mfma_f32_16x16x16_bf16 v[128:131], v[62:63], a[76:77], v[128:131]// 000000009A90: D3E10080 1602993E
	v_perm_b32 v86, v39, v38, s63                              // 000000009A98: D1ED0056 00FE4D27
	v_perm_b32 v87, v39, v38, s64                              // 000000009AA0: D1ED0057 01024D27
	v_mfma_f32_16x16x16_bf16 v[128:131], v[64:65], a[80:81], v[128:131]// 000000009AA8: D3E10080 1602A140
	ds_read_b128 v[92:95], v10 offset:8704                     // 000000009AB0: D9FE2200 5C00000A
	v_mov_b32_e32 v40, 0                                       // 000000009AB8: 7E500280
	s_mov_b64 exec, s[88:89]                                   // 000000009ABC: BEFE0158
	buffer_load_dword v40, v252, s[20:23], 0 idxen             // 000000009AC0: E0502000 800528FC
	s_mov_b64 exec, s[86:87]                                   // 000000009AC8: BEFE0156
	v_mfma_f32_16x16x16_bf16 v[128:131], v[66:67], a[84:85], v[128:131]// 000000009ACC: D3E10080 1602A942
	v_perm_b32 v88, v45, v44, s63                              // 000000009AD4: D1ED0058 00FE592D
	v_perm_b32 v89, v45, v44, s64                              // 000000009ADC: D1ED0059 0102592D
	v_mfma_f32_16x16x16_bf16 v[128:131], v[68:69], a[88:89], v[128:131]// 000000009AE4: D3E10080 1602B144
	ds_read_b128 v[96:99], v10 offset:9216                     // 000000009AEC: D9FE2400 6000000A
	v_mov_b32_e32 v41, 0                                       // 000000009AF4: 7E520280
	s_mov_b64 exec, s[88:89]                                   // 000000009AF8: BEFE0158
	buffer_load_dword v41, v253, s[20:23], 0 idxen             // 000000009AFC: E0502000 800529FD
	s_mov_b64 exec, s[86:87]                                   // 000000009B04: BEFE0156
	v_mfma_f32_16x16x16_bf16 v[128:131], v[70:71], a[92:93], v[128:131]// 000000009B08: D3E10080 1602B946
	v_perm_b32 v90, v47, v46, s63                              // 000000009B10: D1ED005A 00FE5D2F
	v_perm_b32 v91, v47, v46, s64                              // 000000009B18: D1ED005B 01025D2F
	v_mfma_f32_16x16x16_bf16 v[132:135], v[48:49], a[50:51], 0 // 000000009B20: D3E10084 12026530
	ds_read_b128 v[100:103], v10 offset:10880                  // 000000009B28: D9FE2A80 6400000A
	v_mov_b32_e32 v42, 0                                       // 000000009B30: 7E540280
	s_mov_b64 exec, s[88:89]                                   // 000000009B34: BEFE0158
	buffer_load_dword v42, v254, s[20:23], 0 idxen             // 000000009B38: E0502000 80052AFE
	s_mov_b64 exec, s[86:87]                                   // 000000009B40: BEFE0156
	v_mfma_f32_16x16x16_bf16 v[132:135], v[50:51], a[54:55], v[132:135]// 000000009B44: D3E10084 16126D32
	v_mov_b32_dpp v127, v124 quad_perm:[3,3,3,3] row_mask:0xf bank_mask:0xf// 000000009B4C: 7EFE02FA FF00FF7C
	v_mov_b32_dpp v126, v124 quad_perm:[2,2,2,2] row_mask:0xf bank_mask:0xf// 000000009B54: 7EFC02FA FF00AA7C
	v_mfma_f32_16x16x16_bf16 v[132:135], v[52:53], a[58:59], v[132:135]// 000000009B5C: D3E10084 16127534
	ds_read_b128 v[104:107], v10 offset:11392                  // 000000009B64: D9FE2C80 6800000A
	v_mov_b32_e32 v43, 0                                       // 000000009B6C: 7E560280
	s_mov_b64 exec, s[88:89]                                   // 000000009B70: BEFE0158
	buffer_load_dword v43, v255, s[20:23], 0 idxen             // 000000009B74: E0502000 80052BFF
	s_mov_b64 exec, s[86:87]                                   // 000000009B7C: BEFE0156
	v_mfma_f32_16x16x16_bf16 v[132:135], v[54:55], a[62:63], v[132:135]// 000000009B80: D3E10084 16127D36
	v_mov_b32_dpp v125, v124 quad_perm:[1,1,1,1] row_mask:0xf bank_mask:0xf// 000000009B88: 7EFA02FA FF00557C
	v_mov_b32_dpp v124, v124 quad_perm:[0,0,0,0] row_mask:0xf bank_mask:0xf// 000000009B90: 7EF802FA FF00007C
	s_add_u32 s60, 64, s59                                     // 000000009B98: 803C3BC0
	v_mfma_f32_16x16x16_bf16 v[132:135], v[56:57], a[66:67], v[132:135]// 000000009B9C: D3E10084 16128538
	buffer_load_dword v9, s[24:27], 0 idxen lds                // 000000009BA4: E0512000 80060009
	v_mfma_f32_16x16x16_bf16 v[132:135], v[58:59], a[70:71], v[132:135]// 000000009BAC: D3E10084 16128D3A
	s_cmp_lt_u32 s60, s58                                      // 000000009BB4: BF0A3A3C
	s_cselect_b32 s68, s68, 0                                  // 000000009BB8: 85448044
	s_cselect_b32 s97, s97, 0                                  // 000000009BBC: 85618061
	s_cselect_b32 s69, s69, 0                                  // 000000009BC0: 85458045
	v_mfma_f32_16x16x16_bf16 v[132:135], v[60:61], a[74:75], v[132:135]// 000000009BC4: D3E10084 1612953C
	v_add_u32_e32 v1, s68, v1                                  // 000000009BCC: 68020244
	v_add_u32_e32 v2, s68, v2                                  // 000000009BD0: 68040444
	v_add_u32_e32 v3, s68, v3                                  // 000000009BD4: 68060644
	v_add_u32_e32 v4, s68, v4                                  // 000000009BD8: 68080844
	v_mfma_f32_16x16x16_bf16 v[132:135], v[62:63], a[78:79], v[132:135]// 000000009BDC: D3E10084 16129D3E
	v_add_u32_e32 v252, s97, v252                              // 000000009BE4: 69F9F861
	v_add_u32_e32 v253, s97, v253                              // 000000009BE8: 69FBFA61
	v_add_u32_e32 v254, s97, v254                              // 000000009BEC: 69FDFC61
	v_add_u32_e32 v255, s97, v255                              // 000000009BF0: 69FFFE61
	v_mfma_f32_16x16x16_bf16 v[132:135], v[64:65], a[82:83], v[132:135]// 000000009BF4: D3E10084 1612A540
	s_mov_b32 m0, s77                                          // 000000009BFC: BEFC004D
	v_add_u32_e32 v9, s69, v9                                  // 000000009C00: 68121245
	v_mfma_f32_16x16x16_bf16 v[132:135], v[66:67], a[86:87], v[132:135]// 000000009C04: D3E10084 1612AD42
	s_cmp_ge_u32 s59, 16                                       // 000000009C0C: BF09903B
	s_cselect_b32 s66, s67, s66                                // 000000009C10: 85424243
	v_mfma_f32_16x16x16_bf16 v[132:135], v[68:69], a[90:91], v[132:135]// 000000009C14: D3E10084 1612B544
	s_addk_i32 s59, 0x10                                       // 000000009C1C: B73B0010
	s_nop 0                                                    // 000000009C20: BF800000
	s_cmp_lt_i32 s59, s58                                      // 000000009C24: BF043A3B
	v_mfma_f32_16x16x16_bf16 v[132:135], v[70:71], a[94:95], v[132:135]// 000000009C28: D3E10084 1612BD46
	s_cbranch_scc0 label_10B2                                  // 000000009C30: BF84F91B
	s_branch label_10B5                                        // 000000009C34: BF82F91D

0000000000009c38 <label_17A2>:
	buffer_atomic_add_f32 v140, v7, s[32:35], 0 offen offset:256// 000000009C38: E1341100 80088C07
	buffer_atomic_add_f32 v141, v8, s[32:35], 0 offen offset:256// 000000009C40: E1341100 80088D08
	buffer_atomic_add_f32 v142, v7, s[32:35], 0 offen offset:384// 000000009C48: E1341180 80088E07
	buffer_atomic_add_f32 v143, v8, s[32:35], 0 offen offset:384// 000000009C50: E1341180 80088F08
	v_add_u32_e32 v7, s66, v7                                  // 000000009C58: 680E0E42
	v_add_u32_e32 v8, s66, v8                                  // 000000009C5C: 68101042
	v_lshrrev_b32_e32 v28, 5, v0                               // 000000009C60: 20380085
	v_mul_i32_i24_e32 v25, 0x42, v28                           // 000000009C64: 0C3238FF 00000042
	v_and_b32_e32 v28, 31, v0                                  // 000000009C6C: 2638009F
	v_mul_i32_i24_e32 v29, 2, v28                              // 000000009C70: 0C3A3882
	v_add_u32_e32 v25, v29, v25                                // 000000009C74: 6832331D
	s_mul_i32 s60, s46, 0x420                                  // 000000009C78: 923CFF2E 00000420
	v_add_u32_e32 v25, s60, v25                                // 000000009C80: 6832323C
	v_lshlrev_b32_e32 v25, 2, v25                              // 000000009C84: 24323282
	v_mul_f32_e32 v128, s47, v128                              // 000000009C88: 0B01002F
	v_mul_f32_e32 v129, s47, v129                              // 000000009C8C: 0B03022F
	v_mul_f32_e32 v130, s47, v130                              // 000000009C90: 0B05042F
	v_mul_f32_e32 v131, s47, v131                              // 000000009C94: 0B07062F
	v_mul_f32_e32 v132, s47, v132                              // 000000009C98: 0B09082F
	v_mul_f32_e32 v133, s47, v133                              // 000000009C9C: 0B0B0A2F
	v_mul_f32_e32 v134, s47, v134                              // 000000009CA0: 0B0D0C2F
	v_mul_f32_e32 v135, s47, v135                              // 000000009CA4: 0B0F0E2F
	ds_write_b64 v20, v[128:129] offset:24320                  // 000000009CA8: D89A5F00 00008014
	ds_write_b64 v20, v[130:131] offset:24832                  // 000000009CB0: D89A6100 00008214
	ds_write_b64 v20, v[132:133] offset:25344                  // 000000009CB8: D89A6300 00008414
	ds_write_b64 v20, v[134:135] offset:25856                  // 000000009CC0: D89A6500 00008614
	s_waitcnt lgkmcnt(0)                                       // 000000009CC8: BF8CC07F
	s_barrier                                                  // 000000009CCC: BF8A0000
	ds_read_b64 v[136:137], v19 offset:24320                   // 000000009CD0: D8EC5F00 88000013
	ds_read_b64 v[138:139], v19 offset:26368                   // 000000009CD8: D8EC6700 8A000013
	ds_read_b64 v[140:141], v19 offset:28416                   // 000000009CE0: D8EC6F00 8C000013
	ds_read_b64 v[142:143], v19 offset:30464                   // 000000009CE8: D8EC7700 8E000013
	s_waitcnt lgkmcnt(0)                                       // 000000009CF0: BF8CC07F
	s_barrier                                                  // 000000009CF4: BF8A0000
	buffer_atomic_add_f32 v136, v7, s[32:35], 0 offen          // 000000009CF8: E1341000 80088807
	buffer_atomic_add_f32 v137, v8, s[32:35], 0 offen          // 000000009D00: E1341000 80088908
	buffer_atomic_add_f32 v138, v7, s[32:35], 0 offen offset:128// 000000009D08: E1341080 80088A07
	buffer_atomic_add_f32 v139, v8, s[32:35], 0 offen offset:128// 000000009D10: E1341080 80088B08
	buffer_atomic_add_f32 v140, v7, s[32:35], 0 offen offset:256// 000000009D18: E1341100 80088C07
	buffer_atomic_add_f32 v141, v8, s[32:35], 0 offen offset:256// 000000009D20: E1341100 80088D08
	buffer_atomic_add_f32 v142, v7, s[32:35], 0 offen offset:384// 000000009D28: E1341180 80088E07
	buffer_atomic_add_f32 v143, v8, s[32:35], 0 offen offset:384// 000000009D30: E1341180 80088F08
	v_lshrrev_b32_e32 v28, 4, v0                               // 000000009D38: 20380084
	v_mul_i32_i24_e32 v24, 2, v28                              // 000000009D3C: 0C303882
	v_and_b32_e32 v28, 15, v0                                  // 000000009D40: 2638008F
	v_mul_i32_i24_e32 v29, 0x42, v28                           // 000000009D44: 0C3A38FF 00000042
	v_add_u32_e32 v24, v29, v24                                // 000000009D4C: 6830311D
	s_mul_i32 s60, s46, 0x420                                  // 000000009D50: 923CFF2E 00000420
	v_add_u32_e32 v24, s60, v24                                // 000000009D58: 6830303C
	v_lshlrev_b32_e32 v24, 2, v24                              // 000000009D5C: 24303082
	v_accvgpr_read_b32 v30, a160                               // 000000009D60: D3D8401E 180001A0
	v_accvgpr_read_b32 v31, a161                               // 000000009D68: D3D8401F 180001A1
	v_mul_f32_e32 v30, s47, v30                                // 000000009D70: 0A3C3C2F
	v_mul_f32_e32 v31, s47, v31                                // 000000009D74: 0A3E3E2F
	v_cmp_u_f32_e64 s[74:75], v30, v30                         // 000000009D78: D048004A 00023D1E
	v_bfe_u32 v248, v30, 16, 1                                 // 000000009D80: D1C800F8 0205211E
	v_add3_u32 v248, v30, v248, v251                           // 000000009D88: D1FF00F8 07EFF11E
	v_cndmask_b32_e64 v28, v248, v250, s[74:75]                // 000000009D90: D100001C 012BF5F8
	v_lshrrev_b32_e32 v28, 16, v28                             // 000000009D98: 20383890
	v_cmp_u_f32_e64 s[74:75], v31, v31                         // 000000009D9C: D048004A 00023F1F
	v_bfe_u32 v248, v31, 16, 1                                 // 000000009DA4: D1C800F8 0205211F
	v_add3_u32 v248, v31, v248, v251                           // 000000009DAC: D1FF00F8 07EFF11F
	v_cndmask_b32_e64 v29, v248, v250, s[74:75]                // 000000009DB4: D100001D 012BF5F8
	v_and_or_b32 v48, v29, v249, v28                           // 000000009DBC: D2010030 0473F31D
	v_accvgpr_read_b32 v30, a162                               // 000000009DC4: D3D8401E 180001A2
	v_accvgpr_read_b32 v31, a163                               // 000000009DCC: D3D8401F 180001A3
	v_mul_f32_e32 v30, s47, v30                                // 000000009DD4: 0A3C3C2F
	v_mul_f32_e32 v31, s47, v31                                // 000000009DD8: 0A3E3E2F
	v_cmp_u_f32_e64 s[74:75], v30, v30                         // 000000009DDC: D048004A 00023D1E
	v_bfe_u32 v248, v30, 16, 1                                 // 000000009DE4: D1C800F8 0205211E
	v_add3_u32 v248, v30, v248, v251                           // 000000009DEC: D1FF00F8 07EFF11E
	v_cndmask_b32_e64 v28, v248, v250, s[74:75]                // 000000009DF4: D100001C 012BF5F8
	v_lshrrev_b32_e32 v28, 16, v28                             // 000000009DFC: 20383890
	v_cmp_u_f32_e64 s[74:75], v31, v31                         // 000000009E00: D048004A 00023F1F
	v_bfe_u32 v248, v31, 16, 1                                 // 000000009E08: D1C800F8 0205211F
	v_add3_u32 v248, v31, v248, v251                           // 000000009E10: D1FF00F8 07EFF11F
	v_cndmask_b32_e64 v29, v248, v250, s[74:75]                // 000000009E18: D100001D 012BF5F8
	v_and_or_b32 v49, v29, v249, v28                           // 000000009E20: D2010031 0473F31D
	v_accvgpr_read_b32 v30, a164                               // 000000009E28: D3D8401E 180001A4
	v_accvgpr_read_b32 v31, a165                               // 000000009E30: D3D8401F 180001A5
	v_mul_f32_e32 v30, s47, v30                                // 000000009E38: 0A3C3C2F
	v_mul_f32_e32 v31, s47, v31                                // 000000009E3C: 0A3E3E2F
	v_cmp_u_f32_e64 s[74:75], v30, v30                         // 000000009E40: D048004A 00023D1E
	v_bfe_u32 v248, v30, 16, 1                                 // 000000009E48: D1C800F8 0205211E
	v_add3_u32 v248, v30, v248, v251                           // 000000009E50: D1FF00F8 07EFF11E
	v_cndmask_b32_e64 v28, v248, v250, s[74:75]                // 000000009E58: D100001C 012BF5F8
	v_lshrrev_b32_e32 v28, 16, v28                             // 000000009E60: 20383890
	v_cmp_u_f32_e64 s[74:75], v31, v31                         // 000000009E64: D048004A 00023F1F
	v_bfe_u32 v248, v31, 16, 1                                 // 000000009E6C: D1C800F8 0205211F
	v_add3_u32 v248, v31, v248, v251                           // 000000009E74: D1FF00F8 07EFF11F
	v_cndmask_b32_e64 v29, v248, v250, s[74:75]                // 000000009E7C: D100001D 012BF5F8
	v_and_or_b32 v50, v29, v249, v28                           // 000000009E84: D2010032 0473F31D
	v_accvgpr_read_b32 v30, a166                               // 000000009E8C: D3D8401E 180001A6
	v_accvgpr_read_b32 v31, a167                               // 000000009E94: D3D8401F 180001A7
	v_mul_f32_e32 v30, s47, v30                                // 000000009E9C: 0A3C3C2F
	v_mul_f32_e32 v31, s47, v31                                // 000000009EA0: 0A3E3E2F
	v_cmp_u_f32_e64 s[74:75], v30, v30                         // 000000009EA4: D048004A 00023D1E
	v_bfe_u32 v248, v30, 16, 1                                 // 000000009EAC: D1C800F8 0205211E
	v_add3_u32 v248, v30, v248, v251                           // 000000009EB4: D1FF00F8 07EFF11E
	v_cndmask_b32_e64 v28, v248, v250, s[74:75]                // 000000009EBC: D100001C 012BF5F8
	v_lshrrev_b32_e32 v28, 16, v28                             // 000000009EC4: 20383890
	v_cmp_u_f32_e64 s[74:75], v31, v31                         // 000000009EC8: D048004A 00023F1F
	v_bfe_u32 v248, v31, 16, 1                                 // 000000009ED0: D1C800F8 0205211F
	v_add3_u32 v248, v31, v248, v251                           // 000000009ED8: D1FF00F8 07EFF11F
	v_cndmask_b32_e64 v29, v248, v250, s[74:75]                // 000000009EE0: D100001D 012BF5F8
	v_and_or_b32 v51, v29, v249, v28                           // 000000009EE8: D2010033 0473F31D
	v_accvgpr_read_b32 v30, a168                               // 000000009EF0: D3D8401E 180001A8
	v_accvgpr_read_b32 v31, a169                               // 000000009EF8: D3D8401F 180001A9
	v_mul_f32_e32 v30, s47, v30                                // 000000009F00: 0A3C3C2F
	v_mul_f32_e32 v31, s47, v31                                // 000000009F04: 0A3E3E2F
	v_cmp_u_f32_e64 s[74:75], v30, v30                         // 000000009F08: D048004A 00023D1E
	v_bfe_u32 v248, v30, 16, 1                                 // 000000009F10: D1C800F8 0205211E
	v_add3_u32 v248, v30, v248, v251                           // 000000009F18: D1FF00F8 07EFF11E
	v_cndmask_b32_e64 v28, v248, v250, s[74:75]                // 000000009F20: D100001C 012BF5F8
	v_lshrrev_b32_e32 v28, 16, v28                             // 000000009F28: 20383890
	v_cmp_u_f32_e64 s[74:75], v31, v31                         // 000000009F2C: D048004A 00023F1F
	v_bfe_u32 v248, v31, 16, 1                                 // 000000009F34: D1C800F8 0205211F
	v_add3_u32 v248, v31, v248, v251                           // 000000009F3C: D1FF00F8 07EFF11F
	v_cndmask_b32_e64 v29, v248, v250, s[74:75]                // 000000009F44: D100001D 012BF5F8
	v_and_or_b32 v52, v29, v249, v28                           // 000000009F4C: D2010034 0473F31D
	v_accvgpr_read_b32 v30, a170                               // 000000009F54: D3D8401E 180001AA
	v_accvgpr_read_b32 v31, a171                               // 000000009F5C: D3D8401F 180001AB
	v_mul_f32_e32 v30, s47, v30                                // 000000009F64: 0A3C3C2F
	v_mul_f32_e32 v31, s47, v31                                // 000000009F68: 0A3E3E2F
	v_cmp_u_f32_e64 s[74:75], v30, v30                         // 000000009F6C: D048004A 00023D1E
	v_bfe_u32 v248, v30, 16, 1                                 // 000000009F74: D1C800F8 0205211E
	v_add3_u32 v248, v30, v248, v251                           // 000000009F7C: D1FF00F8 07EFF11E
	v_cndmask_b32_e64 v28, v248, v250, s[74:75]                // 000000009F84: D100001C 012BF5F8
	v_lshrrev_b32_e32 v28, 16, v28                             // 000000009F8C: 20383890
	v_cmp_u_f32_e64 s[74:75], v31, v31                         // 000000009F90: D048004A 00023F1F
	v_bfe_u32 v248, v31, 16, 1                                 // 000000009F98: D1C800F8 0205211F
	v_add3_u32 v248, v31, v248, v251                           // 000000009FA0: D1FF00F8 07EFF11F
	v_cndmask_b32_e64 v29, v248, v250, s[74:75]                // 000000009FA8: D100001D 012BF5F8
	v_and_or_b32 v53, v29, v249, v28                           // 000000009FB0: D2010035 0473F31D
	v_accvgpr_read_b32 v30, a172                               // 000000009FB8: D3D8401E 180001AC
	v_accvgpr_read_b32 v31, a173                               // 000000009FC0: D3D8401F 180001AD
	v_mul_f32_e32 v30, s47, v30                                // 000000009FC8: 0A3C3C2F
	v_mul_f32_e32 v31, s47, v31                                // 000000009FCC: 0A3E3E2F
	v_cmp_u_f32_e64 s[74:75], v30, v30                         // 000000009FD0: D048004A 00023D1E
	v_bfe_u32 v248, v30, 16, 1                                 // 000000009FD8: D1C800F8 0205211E
	v_add3_u32 v248, v30, v248, v251                           // 000000009FE0: D1FF00F8 07EFF11E
	v_cndmask_b32_e64 v28, v248, v250, s[74:75]                // 000000009FE8: D100001C 012BF5F8
	v_lshrrev_b32_e32 v28, 16, v28                             // 000000009FF0: 20383890
	v_cmp_u_f32_e64 s[74:75], v31, v31                         // 000000009FF4: D048004A 00023F1F
	v_bfe_u32 v248, v31, 16, 1                                 // 000000009FFC: D1C800F8 0205211F
	v_add3_u32 v248, v31, v248, v251                           // 00000000A004: D1FF00F8 07EFF11F
	v_cndmask_b32_e64 v29, v248, v250, s[74:75]                // 00000000A00C: D100001D 012BF5F8
	v_and_or_b32 v54, v29, v249, v28                           // 00000000A014: D2010036 0473F31D
	v_accvgpr_read_b32 v30, a174                               // 00000000A01C: D3D8401E 180001AE
	v_accvgpr_read_b32 v31, a175                               // 00000000A024: D3D8401F 180001AF
	v_mul_f32_e32 v30, s47, v30                                // 00000000A02C: 0A3C3C2F
	v_mul_f32_e32 v31, s47, v31                                // 00000000A030: 0A3E3E2F
	v_cmp_u_f32_e64 s[74:75], v30, v30                         // 00000000A034: D048004A 00023D1E
	v_bfe_u32 v248, v30, 16, 1                                 // 00000000A03C: D1C800F8 0205211E
	v_add3_u32 v248, v30, v248, v251                           // 00000000A044: D1FF00F8 07EFF11E
	v_cndmask_b32_e64 v28, v248, v250, s[74:75]                // 00000000A04C: D100001C 012BF5F8
	v_lshrrev_b32_e32 v28, 16, v28                             // 00000000A054: 20383890
	v_cmp_u_f32_e64 s[74:75], v31, v31                         // 00000000A058: D048004A 00023F1F
	v_bfe_u32 v248, v31, 16, 1                                 // 00000000A060: D1C800F8 0205211F
	v_add3_u32 v248, v31, v248, v251                           // 00000000A068: D1FF00F8 07EFF11F
	v_cndmask_b32_e64 v29, v248, v250, s[74:75]                // 00000000A070: D100001D 012BF5F8
	v_and_or_b32 v55, v29, v249, v28                           // 00000000A078: D2010037 0473F31D
	v_accvgpr_read_b32 v30, a176                               // 00000000A080: D3D8401E 180001B0
	v_accvgpr_read_b32 v31, a177                               // 00000000A088: D3D8401F 180001B1
	v_mul_f32_e32 v30, s47, v30                                // 00000000A090: 0A3C3C2F
	v_mul_f32_e32 v31, s47, v31                                // 00000000A094: 0A3E3E2F
	v_cmp_u_f32_e64 s[74:75], v30, v30                         // 00000000A098: D048004A 00023D1E
	v_bfe_u32 v248, v30, 16, 1                                 // 00000000A0A0: D1C800F8 0205211E
	v_add3_u32 v248, v30, v248, v251                           // 00000000A0A8: D1FF00F8 07EFF11E
	v_cndmask_b32_e64 v28, v248, v250, s[74:75]                // 00000000A0B0: D100001C 012BF5F8
	v_lshrrev_b32_e32 v28, 16, v28                             // 00000000A0B8: 20383890
	v_cmp_u_f32_e64 s[74:75], v31, v31                         // 00000000A0BC: D048004A 00023F1F
	v_bfe_u32 v248, v31, 16, 1                                 // 00000000A0C4: D1C800F8 0205211F
	v_add3_u32 v248, v31, v248, v251                           // 00000000A0CC: D1FF00F8 07EFF11F
	v_cndmask_b32_e64 v29, v248, v250, s[74:75]                // 00000000A0D4: D100001D 012BF5F8
	v_and_or_b32 v56, v29, v249, v28                           // 00000000A0DC: D2010038 0473F31D
	v_accvgpr_read_b32 v30, a178                               // 00000000A0E4: D3D8401E 180001B2
	v_accvgpr_read_b32 v31, a179                               // 00000000A0EC: D3D8401F 180001B3
	v_mul_f32_e32 v30, s47, v30                                // 00000000A0F4: 0A3C3C2F
	v_mul_f32_e32 v31, s47, v31                                // 00000000A0F8: 0A3E3E2F
	v_cmp_u_f32_e64 s[74:75], v30, v30                         // 00000000A0FC: D048004A 00023D1E
	v_bfe_u32 v248, v30, 16, 1                                 // 00000000A104: D1C800F8 0205211E
	v_add3_u32 v248, v30, v248, v251                           // 00000000A10C: D1FF00F8 07EFF11E
	v_cndmask_b32_e64 v28, v248, v250, s[74:75]                // 00000000A114: D100001C 012BF5F8
	v_lshrrev_b32_e32 v28, 16, v28                             // 00000000A11C: 20383890
	v_cmp_u_f32_e64 s[74:75], v31, v31                         // 00000000A120: D048004A 00023F1F
	v_bfe_u32 v248, v31, 16, 1                                 // 00000000A128: D1C800F8 0205211F
	v_add3_u32 v248, v31, v248, v251                           // 00000000A130: D1FF00F8 07EFF11F
	v_cndmask_b32_e64 v29, v248, v250, s[74:75]                // 00000000A138: D100001D 012BF5F8
	v_and_or_b32 v57, v29, v249, v28                           // 00000000A140: D2010039 0473F31D
	v_accvgpr_read_b32 v30, a180                               // 00000000A148: D3D8401E 180001B4
	v_accvgpr_read_b32 v31, a181                               // 00000000A150: D3D8401F 180001B5
	v_mul_f32_e32 v30, s47, v30                                // 00000000A158: 0A3C3C2F
	v_mul_f32_e32 v31, s47, v31                                // 00000000A15C: 0A3E3E2F
	v_cmp_u_f32_e64 s[74:75], v30, v30                         // 00000000A160: D048004A 00023D1E
	v_bfe_u32 v248, v30, 16, 1                                 // 00000000A168: D1C800F8 0205211E
	v_add3_u32 v248, v30, v248, v251                           // 00000000A170: D1FF00F8 07EFF11E
	v_cndmask_b32_e64 v28, v248, v250, s[74:75]                // 00000000A178: D100001C 012BF5F8
	v_lshrrev_b32_e32 v28, 16, v28                             // 00000000A180: 20383890
	v_cmp_u_f32_e64 s[74:75], v31, v31                         // 00000000A184: D048004A 00023F1F
	v_bfe_u32 v248, v31, 16, 1                                 // 00000000A18C: D1C800F8 0205211F
	v_add3_u32 v248, v31, v248, v251                           // 00000000A194: D1FF00F8 07EFF11F
	v_cndmask_b32_e64 v29, v248, v250, s[74:75]                // 00000000A19C: D100001D 012BF5F8
	v_and_or_b32 v58, v29, v249, v28                           // 00000000A1A4: D201003A 0473F31D
	v_accvgpr_read_b32 v30, a182                               // 00000000A1AC: D3D8401E 180001B6
	v_accvgpr_read_b32 v31, a183                               // 00000000A1B4: D3D8401F 180001B7
	v_mul_f32_e32 v30, s47, v30                                // 00000000A1BC: 0A3C3C2F
	v_mul_f32_e32 v31, s47, v31                                // 00000000A1C0: 0A3E3E2F
	v_cmp_u_f32_e64 s[74:75], v30, v30                         // 00000000A1C4: D048004A 00023D1E
	v_bfe_u32 v248, v30, 16, 1                                 // 00000000A1CC: D1C800F8 0205211E
	v_add3_u32 v248, v30, v248, v251                           // 00000000A1D4: D1FF00F8 07EFF11E
	v_cndmask_b32_e64 v28, v248, v250, s[74:75]                // 00000000A1DC: D100001C 012BF5F8
	v_lshrrev_b32_e32 v28, 16, v28                             // 00000000A1E4: 20383890
	v_cmp_u_f32_e64 s[74:75], v31, v31                         // 00000000A1E8: D048004A 00023F1F
	v_bfe_u32 v248, v31, 16, 1                                 // 00000000A1F0: D1C800F8 0205211F
	v_add3_u32 v248, v31, v248, v251                           // 00000000A1F8: D1FF00F8 07EFF11F
	v_cndmask_b32_e64 v29, v248, v250, s[74:75]                // 00000000A200: D100001D 012BF5F8
	v_and_or_b32 v59, v29, v249, v28                           // 00000000A208: D201003B 0473F31D
	v_accvgpr_read_b32 v30, a184                               // 00000000A210: D3D8401E 180001B8
	v_accvgpr_read_b32 v31, a185                               // 00000000A218: D3D8401F 180001B9
	v_mul_f32_e32 v30, s47, v30                                // 00000000A220: 0A3C3C2F
	v_mul_f32_e32 v31, s47, v31                                // 00000000A224: 0A3E3E2F
	v_cmp_u_f32_e64 s[74:75], v30, v30                         // 00000000A228: D048004A 00023D1E
	v_bfe_u32 v248, v30, 16, 1                                 // 00000000A230: D1C800F8 0205211E
	v_add3_u32 v248, v30, v248, v251                           // 00000000A238: D1FF00F8 07EFF11E
	v_cndmask_b32_e64 v28, v248, v250, s[74:75]                // 00000000A240: D100001C 012BF5F8
	v_lshrrev_b32_e32 v28, 16, v28                             // 00000000A248: 20383890
	v_cmp_u_f32_e64 s[74:75], v31, v31                         // 00000000A24C: D048004A 00023F1F
	v_bfe_u32 v248, v31, 16, 1                                 // 00000000A254: D1C800F8 0205211F
	v_add3_u32 v248, v31, v248, v251                           // 00000000A25C: D1FF00F8 07EFF11F
	v_cndmask_b32_e64 v29, v248, v250, s[74:75]                // 00000000A264: D100001D 012BF5F8
	v_and_or_b32 v60, v29, v249, v28                           // 00000000A26C: D201003C 0473F31D
	v_accvgpr_read_b32 v30, a186                               // 00000000A274: D3D8401E 180001BA
	v_accvgpr_read_b32 v31, a187                               // 00000000A27C: D3D8401F 180001BB
	v_mul_f32_e32 v30, s47, v30                                // 00000000A284: 0A3C3C2F
	v_mul_f32_e32 v31, s47, v31                                // 00000000A288: 0A3E3E2F
	v_cmp_u_f32_e64 s[74:75], v30, v30                         // 00000000A28C: D048004A 00023D1E
	v_bfe_u32 v248, v30, 16, 1                                 // 00000000A294: D1C800F8 0205211E
	v_add3_u32 v248, v30, v248, v251                           // 00000000A29C: D1FF00F8 07EFF11E
	v_cndmask_b32_e64 v28, v248, v250, s[74:75]                // 00000000A2A4: D100001C 012BF5F8
	v_lshrrev_b32_e32 v28, 16, v28                             // 00000000A2AC: 20383890
	v_cmp_u_f32_e64 s[74:75], v31, v31                         // 00000000A2B0: D048004A 00023F1F
	v_bfe_u32 v248, v31, 16, 1                                 // 00000000A2B8: D1C800F8 0205211F
	v_add3_u32 v248, v31, v248, v251                           // 00000000A2C0: D1FF00F8 07EFF11F
	v_cndmask_b32_e64 v29, v248, v250, s[74:75]                // 00000000A2C8: D100001D 012BF5F8
	v_and_or_b32 v61, v29, v249, v28                           // 00000000A2D0: D201003D 0473F31D
	v_accvgpr_read_b32 v30, a188                               // 00000000A2D8: D3D8401E 180001BC
	v_accvgpr_read_b32 v31, a189                               // 00000000A2E0: D3D8401F 180001BD
	v_mul_f32_e32 v30, s47, v30                                // 00000000A2E8: 0A3C3C2F
	v_mul_f32_e32 v31, s47, v31                                // 00000000A2EC: 0A3E3E2F
	v_cmp_u_f32_e64 s[74:75], v30, v30                         // 00000000A2F0: D048004A 00023D1E
	v_bfe_u32 v248, v30, 16, 1                                 // 00000000A2F8: D1C800F8 0205211E
	v_add3_u32 v248, v30, v248, v251                           // 00000000A300: D1FF00F8 07EFF11E
	v_cndmask_b32_e64 v28, v248, v250, s[74:75]                // 00000000A308: D100001C 012BF5F8
	v_lshrrev_b32_e32 v28, 16, v28                             // 00000000A310: 20383890
	v_cmp_u_f32_e64 s[74:75], v31, v31                         // 00000000A314: D048004A 00023F1F
	v_bfe_u32 v248, v31, 16, 1                                 // 00000000A31C: D1C800F8 0205211F
	v_add3_u32 v248, v31, v248, v251                           // 00000000A324: D1FF00F8 07EFF11F
	v_cndmask_b32_e64 v29, v248, v250, s[74:75]                // 00000000A32C: D100001D 012BF5F8
	v_and_or_b32 v62, v29, v249, v28                           // 00000000A334: D201003E 0473F31D
	v_accvgpr_read_b32 v30, a190                               // 00000000A33C: D3D8401E 180001BE
	v_accvgpr_read_b32 v31, a191                               // 00000000A344: D3D8401F 180001BF
	v_mul_f32_e32 v30, s47, v30                                // 00000000A34C: 0A3C3C2F
	v_mul_f32_e32 v31, s47, v31                                // 00000000A350: 0A3E3E2F
	v_cmp_u_f32_e64 s[74:75], v30, v30                         // 00000000A354: D048004A 00023D1E
	v_bfe_u32 v248, v30, 16, 1                                 // 00000000A35C: D1C800F8 0205211E
	v_add3_u32 v248, v30, v248, v251                           // 00000000A364: D1FF00F8 07EFF11E
	v_cndmask_b32_e64 v28, v248, v250, s[74:75]                // 00000000A36C: D100001C 012BF5F8
	v_lshrrev_b32_e32 v28, 16, v28                             // 00000000A374: 20383890
	v_cmp_u_f32_e64 s[74:75], v31, v31                         // 00000000A378: D048004A 00023F1F
	v_bfe_u32 v248, v31, 16, 1                                 // 00000000A380: D1C800F8 0205211F
	v_add3_u32 v248, v31, v248, v251                           // 00000000A388: D1FF00F8 07EFF11F
	v_cndmask_b32_e64 v29, v248, v250, s[74:75]                // 00000000A390: D100001D 012BF5F8
	v_and_or_b32 v63, v29, v249, v28                           // 00000000A398: D201003F 0473F31D
	ds_write_b64 v25, v[48:49]                                 // 00000000A3A0: D89A0000 00003019
	ds_write_b64 v25, v[50:51] offset:528                      // 00000000A3A8: D89A0210 00003219
	ds_write_b64 v25, v[52:53] offset:1056                     // 00000000A3B0: D89A0420 00003419
	ds_write_b64 v25, v[54:55] offset:1584                     // 00000000A3B8: D89A0630 00003619
	ds_write_b64 v25, v[56:57] offset:2112                     // 00000000A3C0: D89A0840 00003819
	ds_write_b64 v25, v[58:59] offset:2640                     // 00000000A3C8: D89A0A50 00003A19
	ds_write_b64 v25, v[60:61] offset:3168                     // 00000000A3D0: D89A0C60 00003C19
	ds_write_b64 v25, v[62:63] offset:3696                     // 00000000A3D8: D89A0E70 00003E19
	s_waitcnt lgkmcnt(0)                                       // 00000000A3E0: BF8CC07F
	s_barrier                                                  // 00000000A3E4: BF8A0000
	ds_read_b64 v[48:49], v24                                  // 00000000A3E8: D8EC0000 30000018
	ds_read_b64 v[50:51], v24 offset:128                       // 00000000A3F0: D8EC0080 32000018
	ds_read_b64 v[52:53], v24 offset:32                        // 00000000A3F8: D8EC0020 34000018
	ds_read_b64 v[54:55], v24 offset:160                       // 00000000A400: D8EC00A0 36000018
	ds_read_b64 v[56:57], v24 offset:64                        // 00000000A408: D8EC0040 38000018
	ds_read_b64 v[58:59], v24 offset:192                       // 00000000A410: D8EC00C0 3A000018
	ds_read_b64 v[60:61], v24 offset:96                        // 00000000A418: D8EC0060 3C000018
	ds_read_b64 v[62:63], v24 offset:224                       // 00000000A420: D8EC00E0 3E000018
	s_waitcnt lgkmcnt(0)                                       // 00000000A428: BF8CC07F
	s_mov_b32 s70, s52                                         // 00000000A42C: BEC60034
	s_mov_b64 exec, s[90:91]                                   // 00000000A430: BEFE015A
	buffer_store_dwordx4 v[48:51], v5, s[36:39], 0 idxen       // 00000000A434: E07C2000 80093005
	s_mov_b64 exec, s[86:87]                                   // 00000000A43C: BEFE0156
	v_add_u32_e32 v5, s70, v5                                  // 00000000A440: 680A0A46
	s_mov_b64 exec, s[90:91]                                   // 00000000A444: BEFE015A
	buffer_store_dwordx4 v[52:55], v5, s[36:39], 0 idxen       // 00000000A448: E07C2000 80093405
	s_mov_b64 exec, s[86:87]                                   // 00000000A450: BEFE0156
	v_add_u32_e32 v5, s70, v5                                  // 00000000A454: 680A0A46
	s_mov_b64 exec, s[90:91]                                   // 00000000A458: BEFE015A
	buffer_store_dwordx4 v[56:59], v5, s[36:39], 0 idxen       // 00000000A45C: E07C2000 80093805
	s_mov_b64 exec, s[86:87]                                   // 00000000A464: BEFE0156
	v_add_u32_e32 v5, s70, v5                                  // 00000000A468: 680A0A46
	s_mov_b64 exec, s[90:91]                                   // 00000000A46C: BEFE015A
	buffer_store_dwordx4 v[60:63], v5, s[36:39], 0 idxen       // 00000000A470: E07C2000 80093C05
	s_mov_b64 exec, s[86:87]                                   // 00000000A478: BEFE0156
	v_add_u32_e32 v5, s70, v5                                  // 00000000A47C: 680A0A46
	s_mul_i32 s60, 12, s70                                     // 00000000A480: 923C468C
	v_add_u32_e32 v5, s60, v5                                  // 00000000A484: 680A0A3C
	s_barrier                                                  // 00000000A488: BF8A0000
	s_cmp_ge_i32 1, s73                                        // 00000000A48C: BF034981
	s_cbranch_scc1 label_1D53                                  // 00000000A490: BF85039A
	v_accvgpr_read_b32 v30, a192                               // 00000000A494: D3D8401E 180001C0
	v_accvgpr_read_b32 v31, a193                               // 00000000A49C: D3D8401F 180001C1
	v_mul_f32_e32 v30, s47, v30                                // 00000000A4A4: 0A3C3C2F
	v_mul_f32_e32 v31, s47, v31                                // 00000000A4A8: 0A3E3E2F
	v_cmp_u_f32_e64 s[74:75], v30, v30                         // 00000000A4AC: D048004A 00023D1E
	v_bfe_u32 v248, v30, 16, 1                                 // 00000000A4B4: D1C800F8 0205211E
	v_add3_u32 v248, v30, v248, v251                           // 00000000A4BC: D1FF00F8 07EFF11E
	v_cndmask_b32_e64 v28, v248, v250, s[74:75]                // 00000000A4C4: D100001C 012BF5F8
	v_lshrrev_b32_e32 v28, 16, v28                             // 00000000A4CC: 20383890
	v_cmp_u_f32_e64 s[74:75], v31, v31                         // 00000000A4D0: D048004A 00023F1F
	v_bfe_u32 v248, v31, 16, 1                                 // 00000000A4D8: D1C800F8 0205211F
	v_add3_u32 v248, v31, v248, v251                           // 00000000A4E0: D1FF00F8 07EFF11F
	v_cndmask_b32_e64 v29, v248, v250, s[74:75]                // 00000000A4E8: D100001D 012BF5F8
	v_and_or_b32 v64, v29, v249, v28                           // 00000000A4F0: D2010040 0473F31D
	v_accvgpr_read_b32 v30, a194                               // 00000000A4F8: D3D8401E 180001C2
	v_accvgpr_read_b32 v31, a195                               // 00000000A500: D3D8401F 180001C3
	v_mul_f32_e32 v30, s47, v30                                // 00000000A508: 0A3C3C2F
	v_mul_f32_e32 v31, s47, v31                                // 00000000A50C: 0A3E3E2F
	v_cmp_u_f32_e64 s[74:75], v30, v30                         // 00000000A510: D048004A 00023D1E
	v_bfe_u32 v248, v30, 16, 1                                 // 00000000A518: D1C800F8 0205211E
	v_add3_u32 v248, v30, v248, v251                           // 00000000A520: D1FF00F8 07EFF11E
	v_cndmask_b32_e64 v28, v248, v250, s[74:75]                // 00000000A528: D100001C 012BF5F8
	v_lshrrev_b32_e32 v28, 16, v28                             // 00000000A530: 20383890
	v_cmp_u_f32_e64 s[74:75], v31, v31                         // 00000000A534: D048004A 00023F1F
	v_bfe_u32 v248, v31, 16, 1                                 // 00000000A53C: D1C800F8 0205211F
	v_add3_u32 v248, v31, v248, v251                           // 00000000A544: D1FF00F8 07EFF11F
	v_cndmask_b32_e64 v29, v248, v250, s[74:75]                // 00000000A54C: D100001D 012BF5F8
	v_and_or_b32 v65, v29, v249, v28                           // 00000000A554: D2010041 0473F31D
	v_accvgpr_read_b32 v30, a196                               // 00000000A55C: D3D8401E 180001C4
	v_accvgpr_read_b32 v31, a197                               // 00000000A564: D3D8401F 180001C5
	v_mul_f32_e32 v30, s47, v30                                // 00000000A56C: 0A3C3C2F
	v_mul_f32_e32 v31, s47, v31                                // 00000000A570: 0A3E3E2F
	v_cmp_u_f32_e64 s[74:75], v30, v30                         // 00000000A574: D048004A 00023D1E
	v_bfe_u32 v248, v30, 16, 1                                 // 00000000A57C: D1C800F8 0205211E
	v_add3_u32 v248, v30, v248, v251                           // 00000000A584: D1FF00F8 07EFF11E
	v_cndmask_b32_e64 v28, v248, v250, s[74:75]                // 00000000A58C: D100001C 012BF5F8
	v_lshrrev_b32_e32 v28, 16, v28                             // 00000000A594: 20383890
	v_cmp_u_f32_e64 s[74:75], v31, v31                         // 00000000A598: D048004A 00023F1F
	v_bfe_u32 v248, v31, 16, 1                                 // 00000000A5A0: D1C800F8 0205211F
	v_add3_u32 v248, v31, v248, v251                           // 00000000A5A8: D1FF00F8 07EFF11F
	v_cndmask_b32_e64 v29, v248, v250, s[74:75]                // 00000000A5B0: D100001D 012BF5F8
	v_and_or_b32 v66, v29, v249, v28                           // 00000000A5B8: D2010042 0473F31D
	v_accvgpr_read_b32 v30, a198                               // 00000000A5C0: D3D8401E 180001C6
	v_accvgpr_read_b32 v31, a199                               // 00000000A5C8: D3D8401F 180001C7
	v_mul_f32_e32 v30, s47, v30                                // 00000000A5D0: 0A3C3C2F
	v_mul_f32_e32 v31, s47, v31                                // 00000000A5D4: 0A3E3E2F
	v_cmp_u_f32_e64 s[74:75], v30, v30                         // 00000000A5D8: D048004A 00023D1E
	v_bfe_u32 v248, v30, 16, 1                                 // 00000000A5E0: D1C800F8 0205211E
	v_add3_u32 v248, v30, v248, v251                           // 00000000A5E8: D1FF00F8 07EFF11E
	v_cndmask_b32_e64 v28, v248, v250, s[74:75]                // 00000000A5F0: D100001C 012BF5F8
	v_lshrrev_b32_e32 v28, 16, v28                             // 00000000A5F8: 20383890
	v_cmp_u_f32_e64 s[74:75], v31, v31                         // 00000000A5FC: D048004A 00023F1F
	v_bfe_u32 v248, v31, 16, 1                                 // 00000000A604: D1C800F8 0205211F
	v_add3_u32 v248, v31, v248, v251                           // 00000000A60C: D1FF00F8 07EFF11F
	v_cndmask_b32_e64 v29, v248, v250, s[74:75]                // 00000000A614: D100001D 012BF5F8
	v_and_or_b32 v67, v29, v249, v28                           // 00000000A61C: D2010043 0473F31D
	v_accvgpr_read_b32 v30, a200                               // 00000000A624: D3D8401E 180001C8
	v_accvgpr_read_b32 v31, a201                               // 00000000A62C: D3D8401F 180001C9
	v_mul_f32_e32 v30, s47, v30                                // 00000000A634: 0A3C3C2F
	v_mul_f32_e32 v31, s47, v31                                // 00000000A638: 0A3E3E2F
	v_cmp_u_f32_e64 s[74:75], v30, v30                         // 00000000A63C: D048004A 00023D1E
	v_bfe_u32 v248, v30, 16, 1                                 // 00000000A644: D1C800F8 0205211E
	v_add3_u32 v248, v30, v248, v251                           // 00000000A64C: D1FF00F8 07EFF11E
	v_cndmask_b32_e64 v28, v248, v250, s[74:75]                // 00000000A654: D100001C 012BF5F8
	v_lshrrev_b32_e32 v28, 16, v28                             // 00000000A65C: 20383890
	v_cmp_u_f32_e64 s[74:75], v31, v31                         // 00000000A660: D048004A 00023F1F
	v_bfe_u32 v248, v31, 16, 1                                 // 00000000A668: D1C800F8 0205211F
	v_add3_u32 v248, v31, v248, v251                           // 00000000A670: D1FF00F8 07EFF11F
	v_cndmask_b32_e64 v29, v248, v250, s[74:75]                // 00000000A678: D100001D 012BF5F8
	v_and_or_b32 v68, v29, v249, v28                           // 00000000A680: D2010044 0473F31D
	v_accvgpr_read_b32 v30, a202                               // 00000000A688: D3D8401E 180001CA
	v_accvgpr_read_b32 v31, a203                               // 00000000A690: D3D8401F 180001CB
	v_mul_f32_e32 v30, s47, v30                                // 00000000A698: 0A3C3C2F
	v_mul_f32_e32 v31, s47, v31                                // 00000000A69C: 0A3E3E2F
	v_cmp_u_f32_e64 s[74:75], v30, v30                         // 00000000A6A0: D048004A 00023D1E
	v_bfe_u32 v248, v30, 16, 1                                 // 00000000A6A8: D1C800F8 0205211E
	v_add3_u32 v248, v30, v248, v251                           // 00000000A6B0: D1FF00F8 07EFF11E
	v_cndmask_b32_e64 v28, v248, v250, s[74:75]                // 00000000A6B8: D100001C 012BF5F8
	v_lshrrev_b32_e32 v28, 16, v28                             // 00000000A6C0: 20383890
	v_cmp_u_f32_e64 s[74:75], v31, v31                         // 00000000A6C4: D048004A 00023F1F
	v_bfe_u32 v248, v31, 16, 1                                 // 00000000A6CC: D1C800F8 0205211F
	v_add3_u32 v248, v31, v248, v251                           // 00000000A6D4: D1FF00F8 07EFF11F
	v_cndmask_b32_e64 v29, v248, v250, s[74:75]                // 00000000A6DC: D100001D 012BF5F8
	v_and_or_b32 v69, v29, v249, v28                           // 00000000A6E4: D2010045 0473F31D
	v_accvgpr_read_b32 v30, a204                               // 00000000A6EC: D3D8401E 180001CC
	v_accvgpr_read_b32 v31, a205                               // 00000000A6F4: D3D8401F 180001CD
	v_mul_f32_e32 v30, s47, v30                                // 00000000A6FC: 0A3C3C2F
	v_mul_f32_e32 v31, s47, v31                                // 00000000A700: 0A3E3E2F
	v_cmp_u_f32_e64 s[74:75], v30, v30                         // 00000000A704: D048004A 00023D1E
	v_bfe_u32 v248, v30, 16, 1                                 // 00000000A70C: D1C800F8 0205211E
	v_add3_u32 v248, v30, v248, v251                           // 00000000A714: D1FF00F8 07EFF11E
	v_cndmask_b32_e64 v28, v248, v250, s[74:75]                // 00000000A71C: D100001C 012BF5F8
	v_lshrrev_b32_e32 v28, 16, v28                             // 00000000A724: 20383890
	v_cmp_u_f32_e64 s[74:75], v31, v31                         // 00000000A728: D048004A 00023F1F
	v_bfe_u32 v248, v31, 16, 1                                 // 00000000A730: D1C800F8 0205211F
	v_add3_u32 v248, v31, v248, v251                           // 00000000A738: D1FF00F8 07EFF11F
	v_cndmask_b32_e64 v29, v248, v250, s[74:75]                // 00000000A740: D100001D 012BF5F8
	v_and_or_b32 v70, v29, v249, v28                           // 00000000A748: D2010046 0473F31D
	v_accvgpr_read_b32 v30, a206                               // 00000000A750: D3D8401E 180001CE
	v_accvgpr_read_b32 v31, a207                               // 00000000A758: D3D8401F 180001CF
	v_mul_f32_e32 v30, s47, v30                                // 00000000A760: 0A3C3C2F
	v_mul_f32_e32 v31, s47, v31                                // 00000000A764: 0A3E3E2F
	v_cmp_u_f32_e64 s[74:75], v30, v30                         // 00000000A768: D048004A 00023D1E
	v_bfe_u32 v248, v30, 16, 1                                 // 00000000A770: D1C800F8 0205211E
	v_add3_u32 v248, v30, v248, v251                           // 00000000A778: D1FF00F8 07EFF11E
	v_cndmask_b32_e64 v28, v248, v250, s[74:75]                // 00000000A780: D100001C 012BF5F8
	v_lshrrev_b32_e32 v28, 16, v28                             // 00000000A788: 20383890
	v_cmp_u_f32_e64 s[74:75], v31, v31                         // 00000000A78C: D048004A 00023F1F
	v_bfe_u32 v248, v31, 16, 1                                 // 00000000A794: D1C800F8 0205211F
	v_add3_u32 v248, v31, v248, v251                           // 00000000A79C: D1FF00F8 07EFF11F
	v_cndmask_b32_e64 v29, v248, v250, s[74:75]                // 00000000A7A4: D100001D 012BF5F8
	v_and_or_b32 v71, v29, v249, v28                           // 00000000A7AC: D2010047 0473F31D
	v_accvgpr_read_b32 v30, a208                               // 00000000A7B4: D3D8401E 180001D0
	v_accvgpr_read_b32 v31, a209                               // 00000000A7BC: D3D8401F 180001D1
	v_mul_f32_e32 v30, s47, v30                                // 00000000A7C4: 0A3C3C2F
	v_mul_f32_e32 v31, s47, v31                                // 00000000A7C8: 0A3E3E2F
	v_cmp_u_f32_e64 s[74:75], v30, v30                         // 00000000A7CC: D048004A 00023D1E
	v_bfe_u32 v248, v30, 16, 1                                 // 00000000A7D4: D1C800F8 0205211E
	v_add3_u32 v248, v30, v248, v251                           // 00000000A7DC: D1FF00F8 07EFF11E
	v_cndmask_b32_e64 v28, v248, v250, s[74:75]                // 00000000A7E4: D100001C 012BF5F8
	v_lshrrev_b32_e32 v28, 16, v28                             // 00000000A7EC: 20383890
	v_cmp_u_f32_e64 s[74:75], v31, v31                         // 00000000A7F0: D048004A 00023F1F
	v_bfe_u32 v248, v31, 16, 1                                 // 00000000A7F8: D1C800F8 0205211F
	v_add3_u32 v248, v31, v248, v251                           // 00000000A800: D1FF00F8 07EFF11F
	v_cndmask_b32_e64 v29, v248, v250, s[74:75]                // 00000000A808: D100001D 012BF5F8
	v_and_or_b32 v72, v29, v249, v28                           // 00000000A810: D2010048 0473F31D
	v_accvgpr_read_b32 v30, a210                               // 00000000A818: D3D8401E 180001D2
	v_accvgpr_read_b32 v31, a211                               // 00000000A820: D3D8401F 180001D3
	v_mul_f32_e32 v30, s47, v30                                // 00000000A828: 0A3C3C2F
	v_mul_f32_e32 v31, s47, v31                                // 00000000A82C: 0A3E3E2F
	v_cmp_u_f32_e64 s[74:75], v30, v30                         // 00000000A830: D048004A 00023D1E
	v_bfe_u32 v248, v30, 16, 1                                 // 00000000A838: D1C800F8 0205211E
	v_add3_u32 v248, v30, v248, v251                           // 00000000A840: D1FF00F8 07EFF11E
	v_cndmask_b32_e64 v28, v248, v250, s[74:75]                // 00000000A848: D100001C 012BF5F8
	v_lshrrev_b32_e32 v28, 16, v28                             // 00000000A850: 20383890
	v_cmp_u_f32_e64 s[74:75], v31, v31                         // 00000000A854: D048004A 00023F1F
	v_bfe_u32 v248, v31, 16, 1                                 // 00000000A85C: D1C800F8 0205211F
	v_add3_u32 v248, v31, v248, v251                           // 00000000A864: D1FF00F8 07EFF11F
	v_cndmask_b32_e64 v29, v248, v250, s[74:75]                // 00000000A86C: D100001D 012BF5F8
	v_and_or_b32 v73, v29, v249, v28                           // 00000000A874: D2010049 0473F31D
	v_accvgpr_read_b32 v30, a212                               // 00000000A87C: D3D8401E 180001D4
	v_accvgpr_read_b32 v31, a213                               // 00000000A884: D3D8401F 180001D5
	v_mul_f32_e32 v30, s47, v30                                // 00000000A88C: 0A3C3C2F
	v_mul_f32_e32 v31, s47, v31                                // 00000000A890: 0A3E3E2F
	v_cmp_u_f32_e64 s[74:75], v30, v30                         // 00000000A894: D048004A 00023D1E
	v_bfe_u32 v248, v30, 16, 1                                 // 00000000A89C: D1C800F8 0205211E
	v_add3_u32 v248, v30, v248, v251                           // 00000000A8A4: D1FF00F8 07EFF11E
	v_cndmask_b32_e64 v28, v248, v250, s[74:75]                // 00000000A8AC: D100001C 012BF5F8
	v_lshrrev_b32_e32 v28, 16, v28                             // 00000000A8B4: 20383890
	v_cmp_u_f32_e64 s[74:75], v31, v31                         // 00000000A8B8: D048004A 00023F1F
	v_bfe_u32 v248, v31, 16, 1                                 // 00000000A8C0: D1C800F8 0205211F
	v_add3_u32 v248, v31, v248, v251                           // 00000000A8C8: D1FF00F8 07EFF11F
	v_cndmask_b32_e64 v29, v248, v250, s[74:75]                // 00000000A8D0: D100001D 012BF5F8
	v_and_or_b32 v74, v29, v249, v28                           // 00000000A8D8: D201004A 0473F31D
	v_accvgpr_read_b32 v30, a214                               // 00000000A8E0: D3D8401E 180001D6
	v_accvgpr_read_b32 v31, a215                               // 00000000A8E8: D3D8401F 180001D7
	v_mul_f32_e32 v30, s47, v30                                // 00000000A8F0: 0A3C3C2F
	v_mul_f32_e32 v31, s47, v31                                // 00000000A8F4: 0A3E3E2F
	v_cmp_u_f32_e64 s[74:75], v30, v30                         // 00000000A8F8: D048004A 00023D1E
	v_bfe_u32 v248, v30, 16, 1                                 // 00000000A900: D1C800F8 0205211E
	v_add3_u32 v248, v30, v248, v251                           // 00000000A908: D1FF00F8 07EFF11E
	v_cndmask_b32_e64 v28, v248, v250, s[74:75]                // 00000000A910: D100001C 012BF5F8
	v_lshrrev_b32_e32 v28, 16, v28                             // 00000000A918: 20383890
	v_cmp_u_f32_e64 s[74:75], v31, v31                         // 00000000A91C: D048004A 00023F1F
	v_bfe_u32 v248, v31, 16, 1                                 // 00000000A924: D1C800F8 0205211F
	v_add3_u32 v248, v31, v248, v251                           // 00000000A92C: D1FF00F8 07EFF11F
	v_cndmask_b32_e64 v29, v248, v250, s[74:75]                // 00000000A934: D100001D 012BF5F8
	v_and_or_b32 v75, v29, v249, v28                           // 00000000A93C: D201004B 0473F31D
	v_accvgpr_read_b32 v30, a216                               // 00000000A944: D3D8401E 180001D8
	v_accvgpr_read_b32 v31, a217                               // 00000000A94C: D3D8401F 180001D9
	v_mul_f32_e32 v30, s47, v30                                // 00000000A954: 0A3C3C2F
	v_mul_f32_e32 v31, s47, v31                                // 00000000A958: 0A3E3E2F
	v_cmp_u_f32_e64 s[74:75], v30, v30                         // 00000000A95C: D048004A 00023D1E
	v_bfe_u32 v248, v30, 16, 1                                 // 00000000A964: D1C800F8 0205211E
	v_add3_u32 v248, v30, v248, v251                           // 00000000A96C: D1FF00F8 07EFF11E
	v_cndmask_b32_e64 v28, v248, v250, s[74:75]                // 00000000A974: D100001C 012BF5F8
	v_lshrrev_b32_e32 v28, 16, v28                             // 00000000A97C: 20383890
	v_cmp_u_f32_e64 s[74:75], v31, v31                         // 00000000A980: D048004A 00023F1F
	v_bfe_u32 v248, v31, 16, 1                                 // 00000000A988: D1C800F8 0205211F
	v_add3_u32 v248, v31, v248, v251                           // 00000000A990: D1FF00F8 07EFF11F
	v_cndmask_b32_e64 v29, v248, v250, s[74:75]                // 00000000A998: D100001D 012BF5F8
	v_and_or_b32 v76, v29, v249, v28                           // 00000000A9A0: D201004C 0473F31D
	v_accvgpr_read_b32 v30, a218                               // 00000000A9A8: D3D8401E 180001DA
	v_accvgpr_read_b32 v31, a219                               // 00000000A9B0: D3D8401F 180001DB
	v_mul_f32_e32 v30, s47, v30                                // 00000000A9B8: 0A3C3C2F
	v_mul_f32_e32 v31, s47, v31                                // 00000000A9BC: 0A3E3E2F
	v_cmp_u_f32_e64 s[74:75], v30, v30                         // 00000000A9C0: D048004A 00023D1E
	v_bfe_u32 v248, v30, 16, 1                                 // 00000000A9C8: D1C800F8 0205211E
	v_add3_u32 v248, v30, v248, v251                           // 00000000A9D0: D1FF00F8 07EFF11E
	v_cndmask_b32_e64 v28, v248, v250, s[74:75]                // 00000000A9D8: D100001C 012BF5F8
	v_lshrrev_b32_e32 v28, 16, v28                             // 00000000A9E0: 20383890
	v_cmp_u_f32_e64 s[74:75], v31, v31                         // 00000000A9E4: D048004A 00023F1F
	v_bfe_u32 v248, v31, 16, 1                                 // 00000000A9EC: D1C800F8 0205211F
	v_add3_u32 v248, v31, v248, v251                           // 00000000A9F4: D1FF00F8 07EFF11F
	v_cndmask_b32_e64 v29, v248, v250, s[74:75]                // 00000000A9FC: D100001D 012BF5F8
	v_and_or_b32 v77, v29, v249, v28                           // 00000000AA04: D201004D 0473F31D
	v_accvgpr_read_b32 v30, a220                               // 00000000AA0C: D3D8401E 180001DC
	v_accvgpr_read_b32 v31, a221                               // 00000000AA14: D3D8401F 180001DD
	v_mul_f32_e32 v30, s47, v30                                // 00000000AA1C: 0A3C3C2F
	v_mul_f32_e32 v31, s47, v31                                // 00000000AA20: 0A3E3E2F
	v_cmp_u_f32_e64 s[74:75], v30, v30                         // 00000000AA24: D048004A 00023D1E
	v_bfe_u32 v248, v30, 16, 1                                 // 00000000AA2C: D1C800F8 0205211E
	v_add3_u32 v248, v30, v248, v251                           // 00000000AA34: D1FF00F8 07EFF11E
	v_cndmask_b32_e64 v28, v248, v250, s[74:75]                // 00000000AA3C: D100001C 012BF5F8
	v_lshrrev_b32_e32 v28, 16, v28                             // 00000000AA44: 20383890
	v_cmp_u_f32_e64 s[74:75], v31, v31                         // 00000000AA48: D048004A 00023F1F
	v_bfe_u32 v248, v31, 16, 1                                 // 00000000AA50: D1C800F8 0205211F
	v_add3_u32 v248, v31, v248, v251                           // 00000000AA58: D1FF00F8 07EFF11F
	v_cndmask_b32_e64 v29, v248, v250, s[74:75]                // 00000000AA60: D100001D 012BF5F8
	v_and_or_b32 v78, v29, v249, v28                           // 00000000AA68: D201004E 0473F31D
	v_accvgpr_read_b32 v30, a222                               // 00000000AA70: D3D8401E 180001DE
	v_accvgpr_read_b32 v31, a223                               // 00000000AA78: D3D8401F 180001DF
	v_mul_f32_e32 v30, s47, v30                                // 00000000AA80: 0A3C3C2F
	v_mul_f32_e32 v31, s47, v31                                // 00000000AA84: 0A3E3E2F
	v_cmp_u_f32_e64 s[74:75], v30, v30                         // 00000000AA88: D048004A 00023D1E
	v_bfe_u32 v248, v30, 16, 1                                 // 00000000AA90: D1C800F8 0205211E
	v_add3_u32 v248, v30, v248, v251                           // 00000000AA98: D1FF00F8 07EFF11E
	v_cndmask_b32_e64 v28, v248, v250, s[74:75]                // 00000000AAA0: D100001C 012BF5F8
	v_lshrrev_b32_e32 v28, 16, v28                             // 00000000AAA8: 20383890
	v_cmp_u_f32_e64 s[74:75], v31, v31                         // 00000000AAAC: D048004A 00023F1F
	v_bfe_u32 v248, v31, 16, 1                                 // 00000000AAB4: D1C800F8 0205211F
	v_add3_u32 v248, v31, v248, v251                           // 00000000AABC: D1FF00F8 07EFF11F
	v_cndmask_b32_e64 v29, v248, v250, s[74:75]                // 00000000AAC4: D100001D 012BF5F8
	v_and_or_b32 v79, v29, v249, v28                           // 00000000AACC: D201004F 0473F31D
	ds_write_b64 v25, v[64:65] offset:16896                    // 00000000AAD4: D89A4200 00004019
	ds_write_b64 v25, v[66:67] offset:17424                    // 00000000AADC: D89A4410 00004219
	ds_write_b64 v25, v[68:69] offset:17952                    // 00000000AAE4: D89A4620 00004419
	ds_write_b64 v25, v[70:71] offset:18480                    // 00000000AAEC: D89A4830 00004619
	ds_write_b64 v25, v[72:73] offset:19008                    // 00000000AAF4: D89A4A40 00004819
	ds_write_b64 v25, v[74:75] offset:19536                    // 00000000AAFC: D89A4C50 00004A19
	ds_write_b64 v25, v[76:77] offset:20064                    // 00000000AB04: D89A4E60 00004C19
	ds_write_b64 v25, v[78:79] offset:20592                    // 00000000AB0C: D89A5070 00004E19
	s_waitcnt lgkmcnt(0)                                       // 00000000AB14: BF8CC07F
	s_barrier                                                  // 00000000AB18: BF8A0000
	ds_read_b64 v[64:65], v24 offset:16896                     // 00000000AB1C: D8EC4200 40000018
	ds_read_b64 v[66:67], v24 offset:17024                     // 00000000AB24: D8EC4280 42000018
	ds_read_b64 v[68:69], v24 offset:16928                     // 00000000AB2C: D8EC4220 44000018
	ds_read_b64 v[70:71], v24 offset:17056                     // 00000000AB34: D8EC42A0 46000018
	ds_read_b64 v[72:73], v24 offset:16960                     // 00000000AB3C: D8EC4240 48000018
	ds_read_b64 v[74:75], v24 offset:17088                     // 00000000AB44: D8EC42C0 4A000018
	ds_read_b64 v[76:77], v24 offset:16992                     // 00000000AB4C: D8EC4260 4C000018
	ds_read_b64 v[78:79], v24 offset:17120                     // 00000000AB54: D8EC42E0 4E000018
	s_waitcnt lgkmcnt(0)                                       // 00000000AB5C: BF8CC07F
	s_mov_b32 s70, s52                                         // 00000000AB60: BEC60034
	s_mov_b64 exec, s[90:91]                                   // 00000000AB64: BEFE015A
	buffer_store_dwordx4 v[64:67], v5, s[36:39], 0 idxen       // 00000000AB68: E07C2000 80094005
	s_mov_b64 exec, s[86:87]                                   // 00000000AB70: BEFE0156
	v_add_u32_e32 v5, s70, v5                                  // 00000000AB74: 680A0A46
	s_mov_b64 exec, s[90:91]                                   // 00000000AB78: BEFE015A
	buffer_store_dwordx4 v[68:71], v5, s[36:39], 0 idxen       // 00000000AB7C: E07C2000 80094405
	s_mov_b64 exec, s[86:87]                                   // 00000000AB84: BEFE0156
	v_add_u32_e32 v5, s70, v5                                  // 00000000AB88: 680A0A46
	s_mov_b64 exec, s[90:91]                                   // 00000000AB8C: BEFE015A
	buffer_store_dwordx4 v[72:75], v5, s[36:39], 0 idxen       // 00000000AB90: E07C2000 80094805
	s_mov_b64 exec, s[86:87]                                   // 00000000AB98: BEFE0156
	v_add_u32_e32 v5, s70, v5                                  // 00000000AB9C: 680A0A46
	s_mov_b64 exec, s[90:91]                                   // 00000000ABA0: BEFE015A
	buffer_store_dwordx4 v[76:79], v5, s[36:39], 0 idxen       // 00000000ABA4: E07C2000 80094C05
	s_mov_b64 exec, s[86:87]                                   // 00000000ABAC: BEFE0156
	v_add_u32_e32 v5, s70, v5                                  // 00000000ABB0: 680A0A46
	s_mul_i32 s60, 12, s70                                     // 00000000ABB4: 923C468C
	v_add_u32_e32 v5, s60, v5                                  // 00000000ABB8: 680A0A3C
	s_barrier                                                  // 00000000ABBC: BF8A0000
	s_cmp_ge_i32 2, s73                                        // 00000000ABC0: BF034982
	s_cbranch_scc1 label_1D53                                  // 00000000ABC4: BF8501CD
	v_accvgpr_read_b32 v30, a224                               // 00000000ABC8: D3D8401E 180001E0
	v_accvgpr_read_b32 v31, a225                               // 00000000ABD0: D3D8401F 180001E1
	v_mul_f32_e32 v30, s47, v30                                // 00000000ABD8: 0A3C3C2F
	v_mul_f32_e32 v31, s47, v31                                // 00000000ABDC: 0A3E3E2F
	v_cmp_u_f32_e64 s[74:75], v30, v30                         // 00000000ABE0: D048004A 00023D1E
	v_bfe_u32 v248, v30, 16, 1                                 // 00000000ABE8: D1C800F8 0205211E
	v_add3_u32 v248, v30, v248, v251                           // 00000000ABF0: D1FF00F8 07EFF11E
	v_cndmask_b32_e64 v28, v248, v250, s[74:75]                // 00000000ABF8: D100001C 012BF5F8
	v_lshrrev_b32_e32 v28, 16, v28                             // 00000000AC00: 20383890
	v_cmp_u_f32_e64 s[74:75], v31, v31                         // 00000000AC04: D048004A 00023F1F
	v_bfe_u32 v248, v31, 16, 1                                 // 00000000AC0C: D1C800F8 0205211F
	v_add3_u32 v248, v31, v248, v251                           // 00000000AC14: D1FF00F8 07EFF11F
	v_cndmask_b32_e64 v29, v248, v250, s[74:75]                // 00000000AC1C: D100001D 012BF5F8
	v_and_or_b32 v80, v29, v249, v28                           // 00000000AC24: D2010050 0473F31D
	v_accvgpr_read_b32 v30, a226                               // 00000000AC2C: D3D8401E 180001E2
	v_accvgpr_read_b32 v31, a227                               // 00000000AC34: D3D8401F 180001E3
	v_mul_f32_e32 v30, s47, v30                                // 00000000AC3C: 0A3C3C2F
	v_mul_f32_e32 v31, s47, v31                                // 00000000AC40: 0A3E3E2F
	v_cmp_u_f32_e64 s[74:75], v30, v30                         // 00000000AC44: D048004A 00023D1E
	v_bfe_u32 v248, v30, 16, 1                                 // 00000000AC4C: D1C800F8 0205211E
	v_add3_u32 v248, v30, v248, v251                           // 00000000AC54: D1FF00F8 07EFF11E
	v_cndmask_b32_e64 v28, v248, v250, s[74:75]                // 00000000AC5C: D100001C 012BF5F8
	v_lshrrev_b32_e32 v28, 16, v28                             // 00000000AC64: 20383890
	v_cmp_u_f32_e64 s[74:75], v31, v31                         // 00000000AC68: D048004A 00023F1F
	v_bfe_u32 v248, v31, 16, 1                                 // 00000000AC70: D1C800F8 0205211F
	v_add3_u32 v248, v31, v248, v251                           // 00000000AC78: D1FF00F8 07EFF11F
	v_cndmask_b32_e64 v29, v248, v250, s[74:75]                // 00000000AC80: D100001D 012BF5F8
	v_and_or_b32 v81, v29, v249, v28                           // 00000000AC88: D2010051 0473F31D
	v_accvgpr_read_b32 v30, a228                               // 00000000AC90: D3D8401E 180001E4
	v_accvgpr_read_b32 v31, a229                               // 00000000AC98: D3D8401F 180001E5
	v_mul_f32_e32 v30, s47, v30                                // 00000000ACA0: 0A3C3C2F
	v_mul_f32_e32 v31, s47, v31                                // 00000000ACA4: 0A3E3E2F
	v_cmp_u_f32_e64 s[74:75], v30, v30                         // 00000000ACA8: D048004A 00023D1E
	v_bfe_u32 v248, v30, 16, 1                                 // 00000000ACB0: D1C800F8 0205211E
	v_add3_u32 v248, v30, v248, v251                           // 00000000ACB8: D1FF00F8 07EFF11E
	v_cndmask_b32_e64 v28, v248, v250, s[74:75]                // 00000000ACC0: D100001C 012BF5F8
	v_lshrrev_b32_e32 v28, 16, v28                             // 00000000ACC8: 20383890
	v_cmp_u_f32_e64 s[74:75], v31, v31                         // 00000000ACCC: D048004A 00023F1F
	v_bfe_u32 v248, v31, 16, 1                                 // 00000000ACD4: D1C800F8 0205211F
	v_add3_u32 v248, v31, v248, v251                           // 00000000ACDC: D1FF00F8 07EFF11F
	v_cndmask_b32_e64 v29, v248, v250, s[74:75]                // 00000000ACE4: D100001D 012BF5F8
	v_and_or_b32 v82, v29, v249, v28                           // 00000000ACEC: D2010052 0473F31D
	v_accvgpr_read_b32 v30, a230                               // 00000000ACF4: D3D8401E 180001E6
	v_accvgpr_read_b32 v31, a231                               // 00000000ACFC: D3D8401F 180001E7
	v_mul_f32_e32 v30, s47, v30                                // 00000000AD04: 0A3C3C2F
	v_mul_f32_e32 v31, s47, v31                                // 00000000AD08: 0A3E3E2F
	v_cmp_u_f32_e64 s[74:75], v30, v30                         // 00000000AD0C: D048004A 00023D1E
	v_bfe_u32 v248, v30, 16, 1                                 // 00000000AD14: D1C800F8 0205211E
	v_add3_u32 v248, v30, v248, v251                           // 00000000AD1C: D1FF00F8 07EFF11E
	v_cndmask_b32_e64 v28, v248, v250, s[74:75]                // 00000000AD24: D100001C 012BF5F8
	v_lshrrev_b32_e32 v28, 16, v28                             // 00000000AD2C: 20383890
	v_cmp_u_f32_e64 s[74:75], v31, v31                         // 00000000AD30: D048004A 00023F1F
	v_bfe_u32 v248, v31, 16, 1                                 // 00000000AD38: D1C800F8 0205211F
	v_add3_u32 v248, v31, v248, v251                           // 00000000AD40: D1FF00F8 07EFF11F
	v_cndmask_b32_e64 v29, v248, v250, s[74:75]                // 00000000AD48: D100001D 012BF5F8
	v_and_or_b32 v83, v29, v249, v28                           // 00000000AD50: D2010053 0473F31D
	v_accvgpr_read_b32 v30, a232                               // 00000000AD58: D3D8401E 180001E8
	v_accvgpr_read_b32 v31, a233                               // 00000000AD60: D3D8401F 180001E9
	v_mul_f32_e32 v30, s47, v30                                // 00000000AD68: 0A3C3C2F
	v_mul_f32_e32 v31, s47, v31                                // 00000000AD6C: 0A3E3E2F
	v_cmp_u_f32_e64 s[74:75], v30, v30                         // 00000000AD70: D048004A 00023D1E
	v_bfe_u32 v248, v30, 16, 1                                 // 00000000AD78: D1C800F8 0205211E
	v_add3_u32 v248, v30, v248, v251                           // 00000000AD80: D1FF00F8 07EFF11E
	v_cndmask_b32_e64 v28, v248, v250, s[74:75]                // 00000000AD88: D100001C 012BF5F8
	v_lshrrev_b32_e32 v28, 16, v28                             // 00000000AD90: 20383890
	v_cmp_u_f32_e64 s[74:75], v31, v31                         // 00000000AD94: D048004A 00023F1F
	v_bfe_u32 v248, v31, 16, 1                                 // 00000000AD9C: D1C800F8 0205211F
	v_add3_u32 v248, v31, v248, v251                           // 00000000ADA4: D1FF00F8 07EFF11F
	v_cndmask_b32_e64 v29, v248, v250, s[74:75]                // 00000000ADAC: D100001D 012BF5F8
	v_and_or_b32 v84, v29, v249, v28                           // 00000000ADB4: D2010054 0473F31D
	v_accvgpr_read_b32 v30, a234                               // 00000000ADBC: D3D8401E 180001EA
	v_accvgpr_read_b32 v31, a235                               // 00000000ADC4: D3D8401F 180001EB
	v_mul_f32_e32 v30, s47, v30                                // 00000000ADCC: 0A3C3C2F
	v_mul_f32_e32 v31, s47, v31                                // 00000000ADD0: 0A3E3E2F
	v_cmp_u_f32_e64 s[74:75], v30, v30                         // 00000000ADD4: D048004A 00023D1E
	v_bfe_u32 v248, v30, 16, 1                                 // 00000000ADDC: D1C800F8 0205211E
	v_add3_u32 v248, v30, v248, v251                           // 00000000ADE4: D1FF00F8 07EFF11E
	v_cndmask_b32_e64 v28, v248, v250, s[74:75]                // 00000000ADEC: D100001C 012BF5F8
	v_lshrrev_b32_e32 v28, 16, v28                             // 00000000ADF4: 20383890
	v_cmp_u_f32_e64 s[74:75], v31, v31                         // 00000000ADF8: D048004A 00023F1F
	v_bfe_u32 v248, v31, 16, 1                                 // 00000000AE00: D1C800F8 0205211F
	v_add3_u32 v248, v31, v248, v251                           // 00000000AE08: D1FF00F8 07EFF11F
	v_cndmask_b32_e64 v29, v248, v250, s[74:75]                // 00000000AE10: D100001D 012BF5F8
	v_and_or_b32 v85, v29, v249, v28                           // 00000000AE18: D2010055 0473F31D
	v_accvgpr_read_b32 v30, a236                               // 00000000AE20: D3D8401E 180001EC
	v_accvgpr_read_b32 v31, a237                               // 00000000AE28: D3D8401F 180001ED
	v_mul_f32_e32 v30, s47, v30                                // 00000000AE30: 0A3C3C2F
	v_mul_f32_e32 v31, s47, v31                                // 00000000AE34: 0A3E3E2F
	v_cmp_u_f32_e64 s[74:75], v30, v30                         // 00000000AE38: D048004A 00023D1E
	v_bfe_u32 v248, v30, 16, 1                                 // 00000000AE40: D1C800F8 0205211E
	v_add3_u32 v248, v30, v248, v251                           // 00000000AE48: D1FF00F8 07EFF11E
	v_cndmask_b32_e64 v28, v248, v250, s[74:75]                // 00000000AE50: D100001C 012BF5F8
	v_lshrrev_b32_e32 v28, 16, v28                             // 00000000AE58: 20383890
	v_cmp_u_f32_e64 s[74:75], v31, v31                         // 00000000AE5C: D048004A 00023F1F
	v_bfe_u32 v248, v31, 16, 1                                 // 00000000AE64: D1C800F8 0205211F
	v_add3_u32 v248, v31, v248, v251                           // 00000000AE6C: D1FF00F8 07EFF11F
	v_cndmask_b32_e64 v29, v248, v250, s[74:75]                // 00000000AE74: D100001D 012BF5F8
	v_and_or_b32 v86, v29, v249, v28                           // 00000000AE7C: D2010056 0473F31D
	v_accvgpr_read_b32 v30, a238                               // 00000000AE84: D3D8401E 180001EE
	v_accvgpr_read_b32 v31, a239                               // 00000000AE8C: D3D8401F 180001EF
	v_mul_f32_e32 v30, s47, v30                                // 00000000AE94: 0A3C3C2F
	v_mul_f32_e32 v31, s47, v31                                // 00000000AE98: 0A3E3E2F
	v_cmp_u_f32_e64 s[74:75], v30, v30                         // 00000000AE9C: D048004A 00023D1E
	v_bfe_u32 v248, v30, 16, 1                                 // 00000000AEA4: D1C800F8 0205211E
	v_add3_u32 v248, v30, v248, v251                           // 00000000AEAC: D1FF00F8 07EFF11E
	v_cndmask_b32_e64 v28, v248, v250, s[74:75]                // 00000000AEB4: D100001C 012BF5F8
	v_lshrrev_b32_e32 v28, 16, v28                             // 00000000AEBC: 20383890
	v_cmp_u_f32_e64 s[74:75], v31, v31                         // 00000000AEC0: D048004A 00023F1F
	v_bfe_u32 v248, v31, 16, 1                                 // 00000000AEC8: D1C800F8 0205211F
	v_add3_u32 v248, v31, v248, v251                           // 00000000AED0: D1FF00F8 07EFF11F
	v_cndmask_b32_e64 v29, v248, v250, s[74:75]                // 00000000AED8: D100001D 012BF5F8
	v_and_or_b32 v87, v29, v249, v28                           // 00000000AEE0: D2010057 0473F31D
	v_accvgpr_read_b32 v30, a240                               // 00000000AEE8: D3D8401E 180001F0
	v_accvgpr_read_b32 v31, a241                               // 00000000AEF0: D3D8401F 180001F1
	v_mul_f32_e32 v30, s47, v30                                // 00000000AEF8: 0A3C3C2F
	v_mul_f32_e32 v31, s47, v31                                // 00000000AEFC: 0A3E3E2F
	v_cmp_u_f32_e64 s[74:75], v30, v30                         // 00000000AF00: D048004A 00023D1E
	v_bfe_u32 v248, v30, 16, 1                                 // 00000000AF08: D1C800F8 0205211E
	v_add3_u32 v248, v30, v248, v251                           // 00000000AF10: D1FF00F8 07EFF11E
	v_cndmask_b32_e64 v28, v248, v250, s[74:75]                // 00000000AF18: D100001C 012BF5F8
	v_lshrrev_b32_e32 v28, 16, v28                             // 00000000AF20: 20383890
	v_cmp_u_f32_e64 s[74:75], v31, v31                         // 00000000AF24: D048004A 00023F1F
	v_bfe_u32 v248, v31, 16, 1                                 // 00000000AF2C: D1C800F8 0205211F
	v_add3_u32 v248, v31, v248, v251                           // 00000000AF34: D1FF00F8 07EFF11F
	v_cndmask_b32_e64 v29, v248, v250, s[74:75]                // 00000000AF3C: D100001D 012BF5F8
	v_and_or_b32 v88, v29, v249, v28                           // 00000000AF44: D2010058 0473F31D
	v_accvgpr_read_b32 v30, a242                               // 00000000AF4C: D3D8401E 180001F2
	v_accvgpr_read_b32 v31, a243                               // 00000000AF54: D3D8401F 180001F3
	v_mul_f32_e32 v30, s47, v30                                // 00000000AF5C: 0A3C3C2F
	v_mul_f32_e32 v31, s47, v31                                // 00000000AF60: 0A3E3E2F
	v_cmp_u_f32_e64 s[74:75], v30, v30                         // 00000000AF64: D048004A 00023D1E
	v_bfe_u32 v248, v30, 16, 1                                 // 00000000AF6C: D1C800F8 0205211E
	v_add3_u32 v248, v30, v248, v251                           // 00000000AF74: D1FF00F8 07EFF11E
	v_cndmask_b32_e64 v28, v248, v250, s[74:75]                // 00000000AF7C: D100001C 012BF5F8
	v_lshrrev_b32_e32 v28, 16, v28                             // 00000000AF84: 20383890
	v_cmp_u_f32_e64 s[74:75], v31, v31                         // 00000000AF88: D048004A 00023F1F
	v_bfe_u32 v248, v31, 16, 1                                 // 00000000AF90: D1C800F8 0205211F
	v_add3_u32 v248, v31, v248, v251                           // 00000000AF98: D1FF00F8 07EFF11F
	v_cndmask_b32_e64 v29, v248, v250, s[74:75]                // 00000000AFA0: D100001D 012BF5F8
	v_and_or_b32 v89, v29, v249, v28                           // 00000000AFA8: D2010059 0473F31D
	v_accvgpr_read_b32 v30, a244                               // 00000000AFB0: D3D8401E 180001F4
	v_accvgpr_read_b32 v31, a245                               // 00000000AFB8: D3D8401F 180001F5
	v_mul_f32_e32 v30, s47, v30                                // 00000000AFC0: 0A3C3C2F
	v_mul_f32_e32 v31, s47, v31                                // 00000000AFC4: 0A3E3E2F
	v_cmp_u_f32_e64 s[74:75], v30, v30                         // 00000000AFC8: D048004A 00023D1E
	v_bfe_u32 v248, v30, 16, 1                                 // 00000000AFD0: D1C800F8 0205211E
	v_add3_u32 v248, v30, v248, v251                           // 00000000AFD8: D1FF00F8 07EFF11E
	v_cndmask_b32_e64 v28, v248, v250, s[74:75]                // 00000000AFE0: D100001C 012BF5F8
	v_lshrrev_b32_e32 v28, 16, v28                             // 00000000AFE8: 20383890
	v_cmp_u_f32_e64 s[74:75], v31, v31                         // 00000000AFEC: D048004A 00023F1F
	v_bfe_u32 v248, v31, 16, 1                                 // 00000000AFF4: D1C800F8 0205211F
	v_add3_u32 v248, v31, v248, v251                           // 00000000AFFC: D1FF00F8 07EFF11F
	v_cndmask_b32_e64 v29, v248, v250, s[74:75]                // 00000000B004: D100001D 012BF5F8
	v_and_or_b32 v90, v29, v249, v28                           // 00000000B00C: D201005A 0473F31D
	v_accvgpr_read_b32 v30, a246                               // 00000000B014: D3D8401E 180001F6
	v_accvgpr_read_b32 v31, a247                               // 00000000B01C: D3D8401F 180001F7
	v_mul_f32_e32 v30, s47, v30                                // 00000000B024: 0A3C3C2F
	v_mul_f32_e32 v31, s47, v31                                // 00000000B028: 0A3E3E2F
	v_cmp_u_f32_e64 s[74:75], v30, v30                         // 00000000B02C: D048004A 00023D1E
	v_bfe_u32 v248, v30, 16, 1                                 // 00000000B034: D1C800F8 0205211E
	v_add3_u32 v248, v30, v248, v251                           // 00000000B03C: D1FF00F8 07EFF11E
	v_cndmask_b32_e64 v28, v248, v250, s[74:75]                // 00000000B044: D100001C 012BF5F8
	v_lshrrev_b32_e32 v28, 16, v28                             // 00000000B04C: 20383890
	v_cmp_u_f32_e64 s[74:75], v31, v31                         // 00000000B050: D048004A 00023F1F
	v_bfe_u32 v248, v31, 16, 1                                 // 00000000B058: D1C800F8 0205211F
	v_add3_u32 v248, v31, v248, v251                           // 00000000B060: D1FF00F8 07EFF11F
	v_cndmask_b32_e64 v29, v248, v250, s[74:75]                // 00000000B068: D100001D 012BF5F8
	v_and_or_b32 v91, v29, v249, v28                           // 00000000B070: D201005B 0473F31D
	v_accvgpr_read_b32 v30, a248                               // 00000000B078: D3D8401E 180001F8
	v_accvgpr_read_b32 v31, a249                               // 00000000B080: D3D8401F 180001F9
	v_mul_f32_e32 v30, s47, v30                                // 00000000B088: 0A3C3C2F
	v_mul_f32_e32 v31, s47, v31                                // 00000000B08C: 0A3E3E2F
	v_cmp_u_f32_e64 s[74:75], v30, v30                         // 00000000B090: D048004A 00023D1E
	v_bfe_u32 v248, v30, 16, 1                                 // 00000000B098: D1C800F8 0205211E
	v_add3_u32 v248, v30, v248, v251                           // 00000000B0A0: D1FF00F8 07EFF11E
	v_cndmask_b32_e64 v28, v248, v250, s[74:75]                // 00000000B0A8: D100001C 012BF5F8
	v_lshrrev_b32_e32 v28, 16, v28                             // 00000000B0B0: 20383890
	v_cmp_u_f32_e64 s[74:75], v31, v31                         // 00000000B0B4: D048004A 00023F1F
	v_bfe_u32 v248, v31, 16, 1                                 // 00000000B0BC: D1C800F8 0205211F
	v_add3_u32 v248, v31, v248, v251                           // 00000000B0C4: D1FF00F8 07EFF11F
	v_cndmask_b32_e64 v29, v248, v250, s[74:75]                // 00000000B0CC: D100001D 012BF5F8
	v_and_or_b32 v92, v29, v249, v28                           // 00000000B0D4: D201005C 0473F31D
	v_accvgpr_read_b32 v30, a250                               // 00000000B0DC: D3D8401E 180001FA
	v_accvgpr_read_b32 v31, a251                               // 00000000B0E4: D3D8401F 180001FB
	v_mul_f32_e32 v30, s47, v30                                // 00000000B0EC: 0A3C3C2F
	v_mul_f32_e32 v31, s47, v31                                // 00000000B0F0: 0A3E3E2F
	v_cmp_u_f32_e64 s[74:75], v30, v30                         // 00000000B0F4: D048004A 00023D1E
	v_bfe_u32 v248, v30, 16, 1                                 // 00000000B0FC: D1C800F8 0205211E
	v_add3_u32 v248, v30, v248, v251                           // 00000000B104: D1FF00F8 07EFF11E
	v_cndmask_b32_e64 v28, v248, v250, s[74:75]                // 00000000B10C: D100001C 012BF5F8
	v_lshrrev_b32_e32 v28, 16, v28                             // 00000000B114: 20383890
	v_cmp_u_f32_e64 s[74:75], v31, v31                         // 00000000B118: D048004A 00023F1F
	v_bfe_u32 v248, v31, 16, 1                                 // 00000000B120: D1C800F8 0205211F
	v_add3_u32 v248, v31, v248, v251                           // 00000000B128: D1FF00F8 07EFF11F
	v_cndmask_b32_e64 v29, v248, v250, s[74:75]                // 00000000B130: D100001D 012BF5F8
	v_and_or_b32 v93, v29, v249, v28                           // 00000000B138: D201005D 0473F31D
	v_accvgpr_read_b32 v30, a252                               // 00000000B140: D3D8401E 180001FC
	v_accvgpr_read_b32 v31, a253                               // 00000000B148: D3D8401F 180001FD
	v_mul_f32_e32 v30, s47, v30                                // 00000000B150: 0A3C3C2F
	v_mul_f32_e32 v31, s47, v31                                // 00000000B154: 0A3E3E2F
	v_cmp_u_f32_e64 s[74:75], v30, v30                         // 00000000B158: D048004A 00023D1E
	v_bfe_u32 v248, v30, 16, 1                                 // 00000000B160: D1C800F8 0205211E
	v_add3_u32 v248, v30, v248, v251                           // 00000000B168: D1FF00F8 07EFF11E
	v_cndmask_b32_e64 v28, v248, v250, s[74:75]                // 00000000B170: D100001C 012BF5F8
	v_lshrrev_b32_e32 v28, 16, v28                             // 00000000B178: 20383890
	v_cmp_u_f32_e64 s[74:75], v31, v31                         // 00000000B17C: D048004A 00023F1F
	v_bfe_u32 v248, v31, 16, 1                                 // 00000000B184: D1C800F8 0205211F
	v_add3_u32 v248, v31, v248, v251                           // 00000000B18C: D1FF00F8 07EFF11F
	v_cndmask_b32_e64 v29, v248, v250, s[74:75]                // 00000000B194: D100001D 012BF5F8
	v_and_or_b32 v94, v29, v249, v28                           // 00000000B19C: D201005E 0473F31D
	v_accvgpr_read_b32 v30, a254                               // 00000000B1A4: D3D8401E 180001FE
	v_accvgpr_read_b32 v31, a255                               // 00000000B1AC: D3D8401F 180001FF
	v_mul_f32_e32 v30, s47, v30                                // 00000000B1B4: 0A3C3C2F
	v_mul_f32_e32 v31, s47, v31                                // 00000000B1B8: 0A3E3E2F
	v_cmp_u_f32_e64 s[74:75], v30, v30                         // 00000000B1BC: D048004A 00023D1E
	v_bfe_u32 v248, v30, 16, 1                                 // 00000000B1C4: D1C800F8 0205211E
	v_add3_u32 v248, v30, v248, v251                           // 00000000B1CC: D1FF00F8 07EFF11E
	v_cndmask_b32_e64 v28, v248, v250, s[74:75]                // 00000000B1D4: D100001C 012BF5F8
	v_lshrrev_b32_e32 v28, 16, v28                             // 00000000B1DC: 20383890
	v_cmp_u_f32_e64 s[74:75], v31, v31                         // 00000000B1E0: D048004A 00023F1F
	v_bfe_u32 v248, v31, 16, 1                                 // 00000000B1E8: D1C800F8 0205211F
	v_add3_u32 v248, v31, v248, v251                           // 00000000B1F0: D1FF00F8 07EFF11F
	v_cndmask_b32_e64 v29, v248, v250, s[74:75]                // 00000000B1F8: D100001D 012BF5F8
	v_and_or_b32 v95, v29, v249, v28                           // 00000000B200: D201005F 0473F31D
	ds_write_b64 v25, v[80:81] offset:33792                    // 00000000B208: D89A8400 00005019
	ds_write_b64 v25, v[82:83] offset:34320                    // 00000000B210: D89A8610 00005219
	ds_write_b64 v25, v[84:85] offset:34848                    // 00000000B218: D89A8820 00005419
	ds_write_b64 v25, v[86:87] offset:35376                    // 00000000B220: D89A8A30 00005619
	ds_write_b64 v25, v[88:89] offset:35904                    // 00000000B228: D89A8C40 00005819
	ds_write_b64 v25, v[90:91] offset:36432                    // 00000000B230: D89A8E50 00005A19
	ds_write_b64 v25, v[92:93] offset:36960                    // 00000000B238: D89A9060 00005C19
	ds_write_b64 v25, v[94:95] offset:37488                    // 00000000B240: D89A9270 00005E19
	s_waitcnt lgkmcnt(0)                                       // 00000000B248: BF8CC07F
	s_barrier                                                  // 00000000B24C: BF8A0000
	ds_read_b64 v[80:81], v24 offset:33792                     // 00000000B250: D8EC8400 50000018
	ds_read_b64 v[82:83], v24 offset:33920                     // 00000000B258: D8EC8480 52000018
	ds_read_b64 v[84:85], v24 offset:33824                     // 00000000B260: D8EC8420 54000018
	ds_read_b64 v[86:87], v24 offset:33952                     // 00000000B268: D8EC84A0 56000018
	ds_read_b64 v[88:89], v24 offset:33856                     // 00000000B270: D8EC8440 58000018
	ds_read_b64 v[90:91], v24 offset:33984                     // 00000000B278: D8EC84C0 5A000018
	ds_read_b64 v[92:93], v24 offset:33888                     // 00000000B280: D8EC8460 5C000018
	ds_read_b64 v[94:95], v24 offset:34016                     // 00000000B288: D8EC84E0 5E000018
	s_waitcnt lgkmcnt(0)                                       // 00000000B290: BF8CC07F
	s_mov_b32 s70, s52                                         // 00000000B294: BEC60034
	s_mov_b64 exec, s[90:91]                                   // 00000000B298: BEFE015A
	buffer_store_dwordx4 v[80:83], v5, s[36:39], 0 idxen       // 00000000B29C: E07C2000 80095005
	s_mov_b64 exec, s[86:87]                                   // 00000000B2A4: BEFE0156
	v_add_u32_e32 v5, s70, v5                                  // 00000000B2A8: 680A0A46
	s_mov_b64 exec, s[90:91]                                   // 00000000B2AC: BEFE015A
	buffer_store_dwordx4 v[84:87], v5, s[36:39], 0 idxen       // 00000000B2B0: E07C2000 80095405
	s_mov_b64 exec, s[86:87]                                   // 00000000B2B8: BEFE0156
	v_add_u32_e32 v5, s70, v5                                  // 00000000B2BC: 680A0A46
	s_mov_b64 exec, s[90:91]                                   // 00000000B2C0: BEFE015A
	buffer_store_dwordx4 v[88:91], v5, s[36:39], 0 idxen       // 00000000B2C4: E07C2000 80095805
	s_mov_b64 exec, s[86:87]                                   // 00000000B2CC: BEFE0156
	v_add_u32_e32 v5, s70, v5                                  // 00000000B2D0: 680A0A46
	s_mov_b64 exec, s[90:91]                                   // 00000000B2D4: BEFE015A
	buffer_store_dwordx4 v[92:95], v5, s[36:39], 0 idxen       // 00000000B2D8: E07C2000 80095C05
	s_mov_b64 exec, s[86:87]                                   // 00000000B2E0: BEFE0156
	v_add_u32_e32 v5, s70, v5                                  // 00000000B2E4: 680A0A46
	s_mul_i32 s60, 12, s70                                     // 00000000B2E8: 923C468C
	v_add_u32_e32 v5, s60, v5                                  // 00000000B2EC: 680A0A3C
	s_barrier                                                  // 00000000B2F0: BF8A0000
	s_cmp_ge_i32 3, s73                                        // 00000000B2F4: BF034983
	s_cbranch_scc1 label_1D53                                  // 00000000B2F8: BF850000

000000000000b2fc <label_1D53>:
	v_mov_b32_e32 v30, v152                                    // 00000000B2FC: 7E3C0398
	v_mov_b32_e32 v31, v153                                    // 00000000B300: 7E3E0399
	v_cmp_u_f32_e64 s[74:75], v30, v30                         // 00000000B304: D048004A 00023D1E
	v_bfe_u32 v248, v30, 16, 1                                 // 00000000B30C: D1C800F8 0205211E
	v_add3_u32 v248, v30, v248, v251                           // 00000000B314: D1FF00F8 07EFF11E
	v_cndmask_b32_e64 v28, v248, v250, s[74:75]                // 00000000B31C: D100001C 012BF5F8
	v_lshrrev_b32_e32 v28, 16, v28                             // 00000000B324: 20383890
	v_cmp_u_f32_e64 s[74:75], v31, v31                         // 00000000B328: D048004A 00023F1F
	v_bfe_u32 v248, v31, 16, 1                                 // 00000000B330: D1C800F8 0205211F
	v_add3_u32 v248, v31, v248, v251                           // 00000000B338: D1FF00F8 07EFF11F
	v_cndmask_b32_e64 v29, v248, v250, s[74:75]                // 00000000B340: D100001D 012BF5F8
	v_and_or_b32 v152, v29, v249, v28                          // 00000000B348: D2010098 0473F31D
	v_mov_b32_e32 v30, v154                                    // 00000000B350: 7E3C039A
	v_mov_b32_e32 v31, v155                                    // 00000000B354: 7E3E039B
	v_cmp_u_f32_e64 s[74:75], v30, v30                         // 00000000B358: D048004A 00023D1E
	v_bfe_u32 v248, v30, 16, 1                                 // 00000000B360: D1C800F8 0205211E
	v_add3_u32 v248, v30, v248, v251                           // 00000000B368: D1FF00F8 07EFF11E
	v_cndmask_b32_e64 v28, v248, v250, s[74:75]                // 00000000B370: D100001C 012BF5F8
	v_lshrrev_b32_e32 v28, 16, v28                             // 00000000B378: 20383890
	v_cmp_u_f32_e64 s[74:75], v31, v31                         // 00000000B37C: D048004A 00023F1F
	v_bfe_u32 v248, v31, 16, 1                                 // 00000000B384: D1C800F8 0205211F
	v_add3_u32 v248, v31, v248, v251                           // 00000000B38C: D1FF00F8 07EFF11F
	v_cndmask_b32_e64 v29, v248, v250, s[74:75]                // 00000000B394: D100001D 012BF5F8
	v_and_or_b32 v153, v29, v249, v28                          // 00000000B39C: D2010099 0473F31D
	v_mov_b32_e32 v30, v156                                    // 00000000B3A4: 7E3C039C
	v_mov_b32_e32 v31, v157                                    // 00000000B3A8: 7E3E039D
	v_cmp_u_f32_e64 s[74:75], v30, v30                         // 00000000B3AC: D048004A 00023D1E
	v_bfe_u32 v248, v30, 16, 1                                 // 00000000B3B4: D1C800F8 0205211E
	v_add3_u32 v248, v30, v248, v251                           // 00000000B3BC: D1FF00F8 07EFF11E
	v_cndmask_b32_e64 v28, v248, v250, s[74:75]                // 00000000B3C4: D100001C 012BF5F8
	v_lshrrev_b32_e32 v28, 16, v28                             // 00000000B3CC: 20383890
	v_cmp_u_f32_e64 s[74:75], v31, v31                         // 00000000B3D0: D048004A 00023F1F
	v_bfe_u32 v248, v31, 16, 1                                 // 00000000B3D8: D1C800F8 0205211F
	v_add3_u32 v248, v31, v248, v251                           // 00000000B3E0: D1FF00F8 07EFF11F
	v_cndmask_b32_e64 v29, v248, v250, s[74:75]                // 00000000B3E8: D100001D 012BF5F8
	v_and_or_b32 v154, v29, v249, v28                          // 00000000B3F0: D201009A 0473F31D
	v_mov_b32_e32 v30, v158                                    // 00000000B3F8: 7E3C039E
	v_mov_b32_e32 v31, v159                                    // 00000000B3FC: 7E3E039F
	v_cmp_u_f32_e64 s[74:75], v30, v30                         // 00000000B400: D048004A 00023D1E
	v_bfe_u32 v248, v30, 16, 1                                 // 00000000B408: D1C800F8 0205211E
	v_add3_u32 v248, v30, v248, v251                           // 00000000B410: D1FF00F8 07EFF11E
	v_cndmask_b32_e64 v28, v248, v250, s[74:75]                // 00000000B418: D100001C 012BF5F8
	v_lshrrev_b32_e32 v28, 16, v28                             // 00000000B420: 20383890
	v_cmp_u_f32_e64 s[74:75], v31, v31                         // 00000000B424: D048004A 00023F1F
	v_bfe_u32 v248, v31, 16, 1                                 // 00000000B42C: D1C800F8 0205211F
	v_add3_u32 v248, v31, v248, v251                           // 00000000B434: D1FF00F8 07EFF11F
	v_cndmask_b32_e64 v29, v248, v250, s[74:75]                // 00000000B43C: D100001D 012BF5F8
	v_and_or_b32 v155, v29, v249, v28                          // 00000000B444: D201009B 0473F31D
	v_mov_b32_e32 v30, v160                                    // 00000000B44C: 7E3C03A0
	v_mov_b32_e32 v31, v161                                    // 00000000B450: 7E3E03A1
	v_cmp_u_f32_e64 s[74:75], v30, v30                         // 00000000B454: D048004A 00023D1E
	v_bfe_u32 v248, v30, 16, 1                                 // 00000000B45C: D1C800F8 0205211E
	v_add3_u32 v248, v30, v248, v251                           // 00000000B464: D1FF00F8 07EFF11E
	v_cndmask_b32_e64 v28, v248, v250, s[74:75]                // 00000000B46C: D100001C 012BF5F8
	v_lshrrev_b32_e32 v28, 16, v28                             // 00000000B474: 20383890
	v_cmp_u_f32_e64 s[74:75], v31, v31                         // 00000000B478: D048004A 00023F1F
	v_bfe_u32 v248, v31, 16, 1                                 // 00000000B480: D1C800F8 0205211F
	v_add3_u32 v248, v31, v248, v251                           // 00000000B488: D1FF00F8 07EFF11F
	v_cndmask_b32_e64 v29, v248, v250, s[74:75]                // 00000000B490: D100001D 012BF5F8
	v_and_or_b32 v156, v29, v249, v28                          // 00000000B498: D201009C 0473F31D
	v_mov_b32_e32 v30, v162                                    // 00000000B4A0: 7E3C03A2
	v_mov_b32_e32 v31, v163                                    // 00000000B4A4: 7E3E03A3
	v_cmp_u_f32_e64 s[74:75], v30, v30                         // 00000000B4A8: D048004A 00023D1E
	v_bfe_u32 v248, v30, 16, 1                                 // 00000000B4B0: D1C800F8 0205211E
	v_add3_u32 v248, v30, v248, v251                           // 00000000B4B8: D1FF00F8 07EFF11E
	v_cndmask_b32_e64 v28, v248, v250, s[74:75]                // 00000000B4C0: D100001C 012BF5F8
	v_lshrrev_b32_e32 v28, 16, v28                             // 00000000B4C8: 20383890
	v_cmp_u_f32_e64 s[74:75], v31, v31                         // 00000000B4CC: D048004A 00023F1F
	v_bfe_u32 v248, v31, 16, 1                                 // 00000000B4D4: D1C800F8 0205211F
	v_add3_u32 v248, v31, v248, v251                           // 00000000B4DC: D1FF00F8 07EFF11F
	v_cndmask_b32_e64 v29, v248, v250, s[74:75]                // 00000000B4E4: D100001D 012BF5F8
	v_and_or_b32 v157, v29, v249, v28                          // 00000000B4EC: D201009D 0473F31D
	v_mov_b32_e32 v30, v164                                    // 00000000B4F4: 7E3C03A4
	v_mov_b32_e32 v31, v165                                    // 00000000B4F8: 7E3E03A5
	v_cmp_u_f32_e64 s[74:75], v30, v30                         // 00000000B4FC: D048004A 00023D1E
	v_bfe_u32 v248, v30, 16, 1                                 // 00000000B504: D1C800F8 0205211E
	v_add3_u32 v248, v30, v248, v251                           // 00000000B50C: D1FF00F8 07EFF11E
	v_cndmask_b32_e64 v28, v248, v250, s[74:75]                // 00000000B514: D100001C 012BF5F8
	v_lshrrev_b32_e32 v28, 16, v28                             // 00000000B51C: 20383890
	v_cmp_u_f32_e64 s[74:75], v31, v31                         // 00000000B520: D048004A 00023F1F
	v_bfe_u32 v248, v31, 16, 1                                 // 00000000B528: D1C800F8 0205211F
	v_add3_u32 v248, v31, v248, v251                           // 00000000B530: D1FF00F8 07EFF11F
	v_cndmask_b32_e64 v29, v248, v250, s[74:75]                // 00000000B538: D100001D 012BF5F8
	v_and_or_b32 v158, v29, v249, v28                          // 00000000B540: D201009E 0473F31D
	v_mov_b32_e32 v30, v166                                    // 00000000B548: 7E3C03A6
	v_mov_b32_e32 v31, v167                                    // 00000000B54C: 7E3E03A7
	v_cmp_u_f32_e64 s[74:75], v30, v30                         // 00000000B550: D048004A 00023D1E
	v_bfe_u32 v248, v30, 16, 1                                 // 00000000B558: D1C800F8 0205211E
	v_add3_u32 v248, v30, v248, v251                           // 00000000B560: D1FF00F8 07EFF11E
	v_cndmask_b32_e64 v28, v248, v250, s[74:75]                // 00000000B568: D100001C 012BF5F8
	v_lshrrev_b32_e32 v28, 16, v28                             // 00000000B570: 20383890
	v_cmp_u_f32_e64 s[74:75], v31, v31                         // 00000000B574: D048004A 00023F1F
	v_bfe_u32 v248, v31, 16, 1                                 // 00000000B57C: D1C800F8 0205211F
	v_add3_u32 v248, v31, v248, v251                           // 00000000B584: D1FF00F8 07EFF11F
	v_cndmask_b32_e64 v29, v248, v250, s[74:75]                // 00000000B58C: D100001D 012BF5F8
	v_and_or_b32 v159, v29, v249, v28                          // 00000000B594: D201009F 0473F31D
	v_mov_b32_e32 v30, v168                                    // 00000000B59C: 7E3C03A8
	v_mov_b32_e32 v31, v169                                    // 00000000B5A0: 7E3E03A9
	v_cmp_u_f32_e64 s[74:75], v30, v30                         // 00000000B5A4: D048004A 00023D1E
	v_bfe_u32 v248, v30, 16, 1                                 // 00000000B5AC: D1C800F8 0205211E
	v_add3_u32 v248, v30, v248, v251                           // 00000000B5B4: D1FF00F8 07EFF11E
	v_cndmask_b32_e64 v28, v248, v250, s[74:75]                // 00000000B5BC: D100001C 012BF5F8
	v_lshrrev_b32_e32 v28, 16, v28                             // 00000000B5C4: 20383890
	v_cmp_u_f32_e64 s[74:75], v31, v31                         // 00000000B5C8: D048004A 00023F1F
	v_bfe_u32 v248, v31, 16, 1                                 // 00000000B5D0: D1C800F8 0205211F
	v_add3_u32 v248, v31, v248, v251                           // 00000000B5D8: D1FF00F8 07EFF11F
	v_cndmask_b32_e64 v29, v248, v250, s[74:75]                // 00000000B5E0: D100001D 012BF5F8
	v_and_or_b32 v160, v29, v249, v28                          // 00000000B5E8: D20100A0 0473F31D
	v_mov_b32_e32 v30, v170                                    // 00000000B5F0: 7E3C03AA
	v_mov_b32_e32 v31, v171                                    // 00000000B5F4: 7E3E03AB
	v_cmp_u_f32_e64 s[74:75], v30, v30                         // 00000000B5F8: D048004A 00023D1E
	v_bfe_u32 v248, v30, 16, 1                                 // 00000000B600: D1C800F8 0205211E
	v_add3_u32 v248, v30, v248, v251                           // 00000000B608: D1FF00F8 07EFF11E
	v_cndmask_b32_e64 v28, v248, v250, s[74:75]                // 00000000B610: D100001C 012BF5F8
	v_lshrrev_b32_e32 v28, 16, v28                             // 00000000B618: 20383890
	v_cmp_u_f32_e64 s[74:75], v31, v31                         // 00000000B61C: D048004A 00023F1F
	v_bfe_u32 v248, v31, 16, 1                                 // 00000000B624: D1C800F8 0205211F
	v_add3_u32 v248, v31, v248, v251                           // 00000000B62C: D1FF00F8 07EFF11F
	v_cndmask_b32_e64 v29, v248, v250, s[74:75]                // 00000000B634: D100001D 012BF5F8
	v_and_or_b32 v161, v29, v249, v28                          // 00000000B63C: D20100A1 0473F31D
	v_mov_b32_e32 v30, v172                                    // 00000000B644: 7E3C03AC
	v_mov_b32_e32 v31, v173                                    // 00000000B648: 7E3E03AD
	v_cmp_u_f32_e64 s[74:75], v30, v30                         // 00000000B64C: D048004A 00023D1E
	v_bfe_u32 v248, v30, 16, 1                                 // 00000000B654: D1C800F8 0205211E
	v_add3_u32 v248, v30, v248, v251                           // 00000000B65C: D1FF00F8 07EFF11E
	v_cndmask_b32_e64 v28, v248, v250, s[74:75]                // 00000000B664: D100001C 012BF5F8
	v_lshrrev_b32_e32 v28, 16, v28                             // 00000000B66C: 20383890
	v_cmp_u_f32_e64 s[74:75], v31, v31                         // 00000000B670: D048004A 00023F1F
	v_bfe_u32 v248, v31, 16, 1                                 // 00000000B678: D1C800F8 0205211F
	v_add3_u32 v248, v31, v248, v251                           // 00000000B680: D1FF00F8 07EFF11F
	v_cndmask_b32_e64 v29, v248, v250, s[74:75]                // 00000000B688: D100001D 012BF5F8
	v_and_or_b32 v162, v29, v249, v28                          // 00000000B690: D20100A2 0473F31D
	v_mov_b32_e32 v30, v174                                    // 00000000B698: 7E3C03AE
	v_mov_b32_e32 v31, v175                                    // 00000000B69C: 7E3E03AF
	v_cmp_u_f32_e64 s[74:75], v30, v30                         // 00000000B6A0: D048004A 00023D1E
	v_bfe_u32 v248, v30, 16, 1                                 // 00000000B6A8: D1C800F8 0205211E
	v_add3_u32 v248, v30, v248, v251                           // 00000000B6B0: D1FF00F8 07EFF11E
	v_cndmask_b32_e64 v28, v248, v250, s[74:75]                // 00000000B6B8: D100001C 012BF5F8
	v_lshrrev_b32_e32 v28, 16, v28                             // 00000000B6C0: 20383890
	v_cmp_u_f32_e64 s[74:75], v31, v31                         // 00000000B6C4: D048004A 00023F1F
	v_bfe_u32 v248, v31, 16, 1                                 // 00000000B6CC: D1C800F8 0205211F
	v_add3_u32 v248, v31, v248, v251                           // 00000000B6D4: D1FF00F8 07EFF11F
	v_cndmask_b32_e64 v29, v248, v250, s[74:75]                // 00000000B6DC: D100001D 012BF5F8
	v_and_or_b32 v163, v29, v249, v28                          // 00000000B6E4: D20100A3 0473F31D
	v_mov_b32_e32 v30, v176                                    // 00000000B6EC: 7E3C03B0
	v_mov_b32_e32 v31, v177                                    // 00000000B6F0: 7E3E03B1
	v_cmp_u_f32_e64 s[74:75], v30, v30                         // 00000000B6F4: D048004A 00023D1E
	v_bfe_u32 v248, v30, 16, 1                                 // 00000000B6FC: D1C800F8 0205211E
	v_add3_u32 v248, v30, v248, v251                           // 00000000B704: D1FF00F8 07EFF11E
	v_cndmask_b32_e64 v28, v248, v250, s[74:75]                // 00000000B70C: D100001C 012BF5F8
	v_lshrrev_b32_e32 v28, 16, v28                             // 00000000B714: 20383890
	v_cmp_u_f32_e64 s[74:75], v31, v31                         // 00000000B718: D048004A 00023F1F
	v_bfe_u32 v248, v31, 16, 1                                 // 00000000B720: D1C800F8 0205211F
	v_add3_u32 v248, v31, v248, v251                           // 00000000B728: D1FF00F8 07EFF11F
	v_cndmask_b32_e64 v29, v248, v250, s[74:75]                // 00000000B730: D100001D 012BF5F8
	v_and_or_b32 v164, v29, v249, v28                          // 00000000B738: D20100A4 0473F31D
	v_mov_b32_e32 v30, v178                                    // 00000000B740: 7E3C03B2
	v_mov_b32_e32 v31, v179                                    // 00000000B744: 7E3E03B3
	v_cmp_u_f32_e64 s[74:75], v30, v30                         // 00000000B748: D048004A 00023D1E
	v_bfe_u32 v248, v30, 16, 1                                 // 00000000B750: D1C800F8 0205211E
	v_add3_u32 v248, v30, v248, v251                           // 00000000B758: D1FF00F8 07EFF11E
	v_cndmask_b32_e64 v28, v248, v250, s[74:75]                // 00000000B760: D100001C 012BF5F8
	v_lshrrev_b32_e32 v28, 16, v28                             // 00000000B768: 20383890
	v_cmp_u_f32_e64 s[74:75], v31, v31                         // 00000000B76C: D048004A 00023F1F
	v_bfe_u32 v248, v31, 16, 1                                 // 00000000B774: D1C800F8 0205211F
	v_add3_u32 v248, v31, v248, v251                           // 00000000B77C: D1FF00F8 07EFF11F
	v_cndmask_b32_e64 v29, v248, v250, s[74:75]                // 00000000B784: D100001D 012BF5F8
	v_and_or_b32 v165, v29, v249, v28                          // 00000000B78C: D20100A5 0473F31D
	v_mov_b32_e32 v30, v180                                    // 00000000B794: 7E3C03B4
	v_mov_b32_e32 v31, v181                                    // 00000000B798: 7E3E03B5
	v_cmp_u_f32_e64 s[74:75], v30, v30                         // 00000000B79C: D048004A 00023D1E
	v_bfe_u32 v248, v30, 16, 1                                 // 00000000B7A4: D1C800F8 0205211E
	v_add3_u32 v248, v30, v248, v251                           // 00000000B7AC: D1FF00F8 07EFF11E
	v_cndmask_b32_e64 v28, v248, v250, s[74:75]                // 00000000B7B4: D100001C 012BF5F8
	v_lshrrev_b32_e32 v28, 16, v28                             // 00000000B7BC: 20383890
	v_cmp_u_f32_e64 s[74:75], v31, v31                         // 00000000B7C0: D048004A 00023F1F
	v_bfe_u32 v248, v31, 16, 1                                 // 00000000B7C8: D1C800F8 0205211F
	v_add3_u32 v248, v31, v248, v251                           // 00000000B7D0: D1FF00F8 07EFF11F
	v_cndmask_b32_e64 v29, v248, v250, s[74:75]                // 00000000B7D8: D100001D 012BF5F8
	v_and_or_b32 v166, v29, v249, v28                          // 00000000B7E0: D20100A6 0473F31D
	v_mov_b32_e32 v30, v182                                    // 00000000B7E8: 7E3C03B6
	v_mov_b32_e32 v31, v183                                    // 00000000B7EC: 7E3E03B7
	v_cmp_u_f32_e64 s[74:75], v30, v30                         // 00000000B7F0: D048004A 00023D1E
	v_bfe_u32 v248, v30, 16, 1                                 // 00000000B7F8: D1C800F8 0205211E
	v_add3_u32 v248, v30, v248, v251                           // 00000000B800: D1FF00F8 07EFF11E
	v_cndmask_b32_e64 v28, v248, v250, s[74:75]                // 00000000B808: D100001C 012BF5F8
	v_lshrrev_b32_e32 v28, 16, v28                             // 00000000B810: 20383890
	v_cmp_u_f32_e64 s[74:75], v31, v31                         // 00000000B814: D048004A 00023F1F
	v_bfe_u32 v248, v31, 16, 1                                 // 00000000B81C: D1C800F8 0205211F
	v_add3_u32 v248, v31, v248, v251                           // 00000000B824: D1FF00F8 07EFF11F
	v_cndmask_b32_e64 v29, v248, v250, s[74:75]                // 00000000B82C: D100001D 012BF5F8
	v_and_or_b32 v167, v29, v249, v28                          // 00000000B834: D20100A7 0473F31D
	ds_write_b64 v25, v[152:153]                               // 00000000B83C: D89A0000 00009819
	ds_write_b64 v25, v[154:155] offset:528                    // 00000000B844: D89A0210 00009A19
	ds_write_b64 v25, v[156:157] offset:1056                   // 00000000B84C: D89A0420 00009C19
	ds_write_b64 v25, v[158:159] offset:1584                   // 00000000B854: D89A0630 00009E19
	ds_write_b64 v25, v[160:161] offset:2112                   // 00000000B85C: D89A0840 0000A019
	ds_write_b64 v25, v[162:163] offset:2640                   // 00000000B864: D89A0A50 0000A219
	ds_write_b64 v25, v[164:165] offset:3168                   // 00000000B86C: D89A0C60 0000A419
	ds_write_b64 v25, v[166:167] offset:3696                   // 00000000B874: D89A0E70 0000A619
	s_waitcnt lgkmcnt(0)                                       // 00000000B87C: BF8CC07F
	s_barrier                                                  // 00000000B880: BF8A0000
	ds_read_b64 v[152:153], v24                                // 00000000B884: D8EC0000 98000018
	ds_read_b64 v[154:155], v24 offset:128                     // 00000000B88C: D8EC0080 9A000018
	ds_read_b64 v[156:157], v24 offset:32                      // 00000000B894: D8EC0020 9C000018
	ds_read_b64 v[158:159], v24 offset:160                     // 00000000B89C: D8EC00A0 9E000018
	ds_read_b64 v[160:161], v24 offset:64                      // 00000000B8A4: D8EC0040 A0000018
	ds_read_b64 v[162:163], v24 offset:192                     // 00000000B8AC: D8EC00C0 A2000018
	ds_read_b64 v[164:165], v24 offset:96                      // 00000000B8B4: D8EC0060 A4000018
	ds_read_b64 v[166:167], v24 offset:224                     // 00000000B8BC: D8EC00E0 A6000018
	s_waitcnt lgkmcnt(0)                                       // 00000000B8C4: BF8CC07F
	s_mov_b32 s70, s53                                         // 00000000B8C8: BEC60035
	s_mov_b64 exec, s[90:91]                                   // 00000000B8CC: BEFE015A
	buffer_store_dwordx4 v[152:155], v6, s[40:43], 0 idxen     // 00000000B8D0: E07C2000 800A9806
	s_mov_b64 exec, s[86:87]                                   // 00000000B8D8: BEFE0156
	v_add_u32_e32 v6, s70, v6                                  // 00000000B8DC: 680C0C46
	s_mov_b64 exec, s[90:91]                                   // 00000000B8E0: BEFE015A
	buffer_store_dwordx4 v[156:159], v6, s[40:43], 0 idxen     // 00000000B8E4: E07C2000 800A9C06
	s_mov_b64 exec, s[86:87]                                   // 00000000B8EC: BEFE0156
	v_add_u32_e32 v6, s70, v6                                  // 00000000B8F0: 680C0C46
	s_mov_b64 exec, s[90:91]                                   // 00000000B8F4: BEFE015A
	buffer_store_dwordx4 v[160:163], v6, s[40:43], 0 idxen     // 00000000B8F8: E07C2000 800AA006
	s_mov_b64 exec, s[86:87]                                   // 00000000B900: BEFE0156
	v_add_u32_e32 v6, s70, v6                                  // 00000000B904: 680C0C46
	s_mov_b64 exec, s[90:91]                                   // 00000000B908: BEFE015A
	buffer_store_dwordx4 v[164:167], v6, s[40:43], 0 idxen     // 00000000B90C: E07C2000 800AA406
	s_mov_b64 exec, s[86:87]                                   // 00000000B914: BEFE0156
	v_add_u32_e32 v6, s70, v6                                  // 00000000B918: 680C0C46
	s_mul_i32 s60, 12, s70                                     // 00000000B91C: 923C468C
	v_add_u32_e32 v6, s60, v6                                  // 00000000B920: 680C0C3C
	s_cmp_ge_i32 1, s73                                        // 00000000B924: BF034981
	s_cbranch_scc1 label_21F7                                  // 00000000B928: BF850318
	v_mov_b32_e32 v30, v184                                    // 00000000B92C: 7E3C03B8
	v_mov_b32_e32 v31, v185                                    // 00000000B930: 7E3E03B9
	v_cmp_u_f32_e64 s[74:75], v30, v30                         // 00000000B934: D048004A 00023D1E
	v_bfe_u32 v248, v30, 16, 1                                 // 00000000B93C: D1C800F8 0205211E
	v_add3_u32 v248, v30, v248, v251                           // 00000000B944: D1FF00F8 07EFF11E
	v_cndmask_b32_e64 v28, v248, v250, s[74:75]                // 00000000B94C: D100001C 012BF5F8
	v_lshrrev_b32_e32 v28, 16, v28                             // 00000000B954: 20383890
	v_cmp_u_f32_e64 s[74:75], v31, v31                         // 00000000B958: D048004A 00023F1F
	v_bfe_u32 v248, v31, 16, 1                                 // 00000000B960: D1C800F8 0205211F
	v_add3_u32 v248, v31, v248, v251                           // 00000000B968: D1FF00F8 07EFF11F
	v_cndmask_b32_e64 v29, v248, v250, s[74:75]                // 00000000B970: D100001D 012BF5F8
	v_and_or_b32 v168, v29, v249, v28                          // 00000000B978: D20100A8 0473F31D
	v_mov_b32_e32 v30, v186                                    // 00000000B980: 7E3C03BA
	v_mov_b32_e32 v31, v187                                    // 00000000B984: 7E3E03BB
	v_cmp_u_f32_e64 s[74:75], v30, v30                         // 00000000B988: D048004A 00023D1E
	v_bfe_u32 v248, v30, 16, 1                                 // 00000000B990: D1C800F8 0205211E
	v_add3_u32 v248, v30, v248, v251                           // 00000000B998: D1FF00F8 07EFF11E
	v_cndmask_b32_e64 v28, v248, v250, s[74:75]                // 00000000B9A0: D100001C 012BF5F8
	v_lshrrev_b32_e32 v28, 16, v28                             // 00000000B9A8: 20383890
	v_cmp_u_f32_e64 s[74:75], v31, v31                         // 00000000B9AC: D048004A 00023F1F
	v_bfe_u32 v248, v31, 16, 1                                 // 00000000B9B4: D1C800F8 0205211F
	v_add3_u32 v248, v31, v248, v251                           // 00000000B9BC: D1FF00F8 07EFF11F
	v_cndmask_b32_e64 v29, v248, v250, s[74:75]                // 00000000B9C4: D100001D 012BF5F8
	v_and_or_b32 v169, v29, v249, v28                          // 00000000B9CC: D20100A9 0473F31D
	v_mov_b32_e32 v30, v188                                    // 00000000B9D4: 7E3C03BC
	v_mov_b32_e32 v31, v189                                    // 00000000B9D8: 7E3E03BD
	v_cmp_u_f32_e64 s[74:75], v30, v30                         // 00000000B9DC: D048004A 00023D1E
	v_bfe_u32 v248, v30, 16, 1                                 // 00000000B9E4: D1C800F8 0205211E
	v_add3_u32 v248, v30, v248, v251                           // 00000000B9EC: D1FF00F8 07EFF11E
	v_cndmask_b32_e64 v28, v248, v250, s[74:75]                // 00000000B9F4: D100001C 012BF5F8
	v_lshrrev_b32_e32 v28, 16, v28                             // 00000000B9FC: 20383890
	v_cmp_u_f32_e64 s[74:75], v31, v31                         // 00000000BA00: D048004A 00023F1F
	v_bfe_u32 v248, v31, 16, 1                                 // 00000000BA08: D1C800F8 0205211F
	v_add3_u32 v248, v31, v248, v251                           // 00000000BA10: D1FF00F8 07EFF11F
	v_cndmask_b32_e64 v29, v248, v250, s[74:75]                // 00000000BA18: D100001D 012BF5F8
	v_and_or_b32 v170, v29, v249, v28                          // 00000000BA20: D20100AA 0473F31D
	v_mov_b32_e32 v30, v190                                    // 00000000BA28: 7E3C03BE
	v_mov_b32_e32 v31, v191                                    // 00000000BA2C: 7E3E03BF
	v_cmp_u_f32_e64 s[74:75], v30, v30                         // 00000000BA30: D048004A 00023D1E
	v_bfe_u32 v248, v30, 16, 1                                 // 00000000BA38: D1C800F8 0205211E
	v_add3_u32 v248, v30, v248, v251                           // 00000000BA40: D1FF00F8 07EFF11E
	v_cndmask_b32_e64 v28, v248, v250, s[74:75]                // 00000000BA48: D100001C 012BF5F8
	v_lshrrev_b32_e32 v28, 16, v28                             // 00000000BA50: 20383890
	v_cmp_u_f32_e64 s[74:75], v31, v31                         // 00000000BA54: D048004A 00023F1F
	v_bfe_u32 v248, v31, 16, 1                                 // 00000000BA5C: D1C800F8 0205211F
	v_add3_u32 v248, v31, v248, v251                           // 00000000BA64: D1FF00F8 07EFF11F
	v_cndmask_b32_e64 v29, v248, v250, s[74:75]                // 00000000BA6C: D100001D 012BF5F8
	v_and_or_b32 v171, v29, v249, v28                          // 00000000BA74: D20100AB 0473F31D
	v_mov_b32_e32 v30, v192                                    // 00000000BA7C: 7E3C03C0
	v_mov_b32_e32 v31, v193                                    // 00000000BA80: 7E3E03C1
	v_cmp_u_f32_e64 s[74:75], v30, v30                         // 00000000BA84: D048004A 00023D1E
	v_bfe_u32 v248, v30, 16, 1                                 // 00000000BA8C: D1C800F8 0205211E
	v_add3_u32 v248, v30, v248, v251                           // 00000000BA94: D1FF00F8 07EFF11E
	v_cndmask_b32_e64 v28, v248, v250, s[74:75]                // 00000000BA9C: D100001C 012BF5F8
	v_lshrrev_b32_e32 v28, 16, v28                             // 00000000BAA4: 20383890
	v_cmp_u_f32_e64 s[74:75], v31, v31                         // 00000000BAA8: D048004A 00023F1F
	v_bfe_u32 v248, v31, 16, 1                                 // 00000000BAB0: D1C800F8 0205211F
	v_add3_u32 v248, v31, v248, v251                           // 00000000BAB8: D1FF00F8 07EFF11F
	v_cndmask_b32_e64 v29, v248, v250, s[74:75]                // 00000000BAC0: D100001D 012BF5F8
	v_and_or_b32 v172, v29, v249, v28                          // 00000000BAC8: D20100AC 0473F31D
	v_mov_b32_e32 v30, v194                                    // 00000000BAD0: 7E3C03C2
	v_mov_b32_e32 v31, v195                                    // 00000000BAD4: 7E3E03C3
	v_cmp_u_f32_e64 s[74:75], v30, v30                         // 00000000BAD8: D048004A 00023D1E
	v_bfe_u32 v248, v30, 16, 1                                 // 00000000BAE0: D1C800F8 0205211E
	v_add3_u32 v248, v30, v248, v251                           // 00000000BAE8: D1FF00F8 07EFF11E
	v_cndmask_b32_e64 v28, v248, v250, s[74:75]                // 00000000BAF0: D100001C 012BF5F8
	v_lshrrev_b32_e32 v28, 16, v28                             // 00000000BAF8: 20383890
	v_cmp_u_f32_e64 s[74:75], v31, v31                         // 00000000BAFC: D048004A 00023F1F
	v_bfe_u32 v248, v31, 16, 1                                 // 00000000BB04: D1C800F8 0205211F
	v_add3_u32 v248, v31, v248, v251                           // 00000000BB0C: D1FF00F8 07EFF11F
	v_cndmask_b32_e64 v29, v248, v250, s[74:75]                // 00000000BB14: D100001D 012BF5F8
	v_and_or_b32 v173, v29, v249, v28                          // 00000000BB1C: D20100AD 0473F31D
	v_mov_b32_e32 v30, v196                                    // 00000000BB24: 7E3C03C4
	v_mov_b32_e32 v31, v197                                    // 00000000BB28: 7E3E03C5
	v_cmp_u_f32_e64 s[74:75], v30, v30                         // 00000000BB2C: D048004A 00023D1E
	v_bfe_u32 v248, v30, 16, 1                                 // 00000000BB34: D1C800F8 0205211E
	v_add3_u32 v248, v30, v248, v251                           // 00000000BB3C: D1FF00F8 07EFF11E
	v_cndmask_b32_e64 v28, v248, v250, s[74:75]                // 00000000BB44: D100001C 012BF5F8
	v_lshrrev_b32_e32 v28, 16, v28                             // 00000000BB4C: 20383890
	v_cmp_u_f32_e64 s[74:75], v31, v31                         // 00000000BB50: D048004A 00023F1F
	v_bfe_u32 v248, v31, 16, 1                                 // 00000000BB58: D1C800F8 0205211F
	v_add3_u32 v248, v31, v248, v251                           // 00000000BB60: D1FF00F8 07EFF11F
	v_cndmask_b32_e64 v29, v248, v250, s[74:75]                // 00000000BB68: D100001D 012BF5F8
	v_and_or_b32 v174, v29, v249, v28                          // 00000000BB70: D20100AE 0473F31D
	v_mov_b32_e32 v30, v198                                    // 00000000BB78: 7E3C03C6
	v_mov_b32_e32 v31, v199                                    // 00000000BB7C: 7E3E03C7
	v_cmp_u_f32_e64 s[74:75], v30, v30                         // 00000000BB80: D048004A 00023D1E
	v_bfe_u32 v248, v30, 16, 1                                 // 00000000BB88: D1C800F8 0205211E
	v_add3_u32 v248, v30, v248, v251                           // 00000000BB90: D1FF00F8 07EFF11E
	v_cndmask_b32_e64 v28, v248, v250, s[74:75]                // 00000000BB98: D100001C 012BF5F8
	v_lshrrev_b32_e32 v28, 16, v28                             // 00000000BBA0: 20383890
	v_cmp_u_f32_e64 s[74:75], v31, v31                         // 00000000BBA4: D048004A 00023F1F
	v_bfe_u32 v248, v31, 16, 1                                 // 00000000BBAC: D1C800F8 0205211F
	v_add3_u32 v248, v31, v248, v251                           // 00000000BBB4: D1FF00F8 07EFF11F
	v_cndmask_b32_e64 v29, v248, v250, s[74:75]                // 00000000BBBC: D100001D 012BF5F8
	v_and_or_b32 v175, v29, v249, v28                          // 00000000BBC4: D20100AF 0473F31D
	v_mov_b32_e32 v30, v200                                    // 00000000BBCC: 7E3C03C8
	v_mov_b32_e32 v31, v201                                    // 00000000BBD0: 7E3E03C9
	v_cmp_u_f32_e64 s[74:75], v30, v30                         // 00000000BBD4: D048004A 00023D1E
	v_bfe_u32 v248, v30, 16, 1                                 // 00000000BBDC: D1C800F8 0205211E
	v_add3_u32 v248, v30, v248, v251                           // 00000000BBE4: D1FF00F8 07EFF11E
	v_cndmask_b32_e64 v28, v248, v250, s[74:75]                // 00000000BBEC: D100001C 012BF5F8
	v_lshrrev_b32_e32 v28, 16, v28                             // 00000000BBF4: 20383890
	v_cmp_u_f32_e64 s[74:75], v31, v31                         // 00000000BBF8: D048004A 00023F1F
	v_bfe_u32 v248, v31, 16, 1                                 // 00000000BC00: D1C800F8 0205211F
	v_add3_u32 v248, v31, v248, v251                           // 00000000BC08: D1FF00F8 07EFF11F
	v_cndmask_b32_e64 v29, v248, v250, s[74:75]                // 00000000BC10: D100001D 012BF5F8
	v_and_or_b32 v176, v29, v249, v28                          // 00000000BC18: D20100B0 0473F31D
	v_mov_b32_e32 v30, v202                                    // 00000000BC20: 7E3C03CA
	v_mov_b32_e32 v31, v203                                    // 00000000BC24: 7E3E03CB
	v_cmp_u_f32_e64 s[74:75], v30, v30                         // 00000000BC28: D048004A 00023D1E
	v_bfe_u32 v248, v30, 16, 1                                 // 00000000BC30: D1C800F8 0205211E
	v_add3_u32 v248, v30, v248, v251                           // 00000000BC38: D1FF00F8 07EFF11E
	v_cndmask_b32_e64 v28, v248, v250, s[74:75]                // 00000000BC40: D100001C 012BF5F8
	v_lshrrev_b32_e32 v28, 16, v28                             // 00000000BC48: 20383890
	v_cmp_u_f32_e64 s[74:75], v31, v31                         // 00000000BC4C: D048004A 00023F1F
	v_bfe_u32 v248, v31, 16, 1                                 // 00000000BC54: D1C800F8 0205211F
	v_add3_u32 v248, v31, v248, v251                           // 00000000BC5C: D1FF00F8 07EFF11F
	v_cndmask_b32_e64 v29, v248, v250, s[74:75]                // 00000000BC64: D100001D 012BF5F8
	v_and_or_b32 v177, v29, v249, v28                          // 00000000BC6C: D20100B1 0473F31D
	v_mov_b32_e32 v30, v204                                    // 00000000BC74: 7E3C03CC
	v_mov_b32_e32 v31, v205                                    // 00000000BC78: 7E3E03CD
	v_cmp_u_f32_e64 s[74:75], v30, v30                         // 00000000BC7C: D048004A 00023D1E
	v_bfe_u32 v248, v30, 16, 1                                 // 00000000BC84: D1C800F8 0205211E
	v_add3_u32 v248, v30, v248, v251                           // 00000000BC8C: D1FF00F8 07EFF11E
	v_cndmask_b32_e64 v28, v248, v250, s[74:75]                // 00000000BC94: D100001C 012BF5F8
	v_lshrrev_b32_e32 v28, 16, v28                             // 00000000BC9C: 20383890
	v_cmp_u_f32_e64 s[74:75], v31, v31                         // 00000000BCA0: D048004A 00023F1F
	v_bfe_u32 v248, v31, 16, 1                                 // 00000000BCA8: D1C800F8 0205211F
	v_add3_u32 v248, v31, v248, v251                           // 00000000BCB0: D1FF00F8 07EFF11F
	v_cndmask_b32_e64 v29, v248, v250, s[74:75]                // 00000000BCB8: D100001D 012BF5F8
	v_and_or_b32 v178, v29, v249, v28                          // 00000000BCC0: D20100B2 0473F31D
	v_mov_b32_e32 v30, v206                                    // 00000000BCC8: 7E3C03CE
	v_mov_b32_e32 v31, v207                                    // 00000000BCCC: 7E3E03CF
	v_cmp_u_f32_e64 s[74:75], v30, v30                         // 00000000BCD0: D048004A 00023D1E
	v_bfe_u32 v248, v30, 16, 1                                 // 00000000BCD8: D1C800F8 0205211E
	v_add3_u32 v248, v30, v248, v251                           // 00000000BCE0: D1FF00F8 07EFF11E
	v_cndmask_b32_e64 v28, v248, v250, s[74:75]                // 00000000BCE8: D100001C 012BF5F8
	v_lshrrev_b32_e32 v28, 16, v28                             // 00000000BCF0: 20383890
	v_cmp_u_f32_e64 s[74:75], v31, v31                         // 00000000BCF4: D048004A 00023F1F
	v_bfe_u32 v248, v31, 16, 1                                 // 00000000BCFC: D1C800F8 0205211F
	v_add3_u32 v248, v31, v248, v251                           // 00000000BD04: D1FF00F8 07EFF11F
	v_cndmask_b32_e64 v29, v248, v250, s[74:75]                // 00000000BD0C: D100001D 012BF5F8
	v_and_or_b32 v179, v29, v249, v28                          // 00000000BD14: D20100B3 0473F31D
	v_mov_b32_e32 v30, v208                                    // 00000000BD1C: 7E3C03D0
	v_mov_b32_e32 v31, v209                                    // 00000000BD20: 7E3E03D1
	v_cmp_u_f32_e64 s[74:75], v30, v30                         // 00000000BD24: D048004A 00023D1E
	v_bfe_u32 v248, v30, 16, 1                                 // 00000000BD2C: D1C800F8 0205211E
	v_add3_u32 v248, v30, v248, v251                           // 00000000BD34: D1FF00F8 07EFF11E
	v_cndmask_b32_e64 v28, v248, v250, s[74:75]                // 00000000BD3C: D100001C 012BF5F8
	v_lshrrev_b32_e32 v28, 16, v28                             // 00000000BD44: 20383890
	v_cmp_u_f32_e64 s[74:75], v31, v31                         // 00000000BD48: D048004A 00023F1F
	v_bfe_u32 v248, v31, 16, 1                                 // 00000000BD50: D1C800F8 0205211F
	v_add3_u32 v248, v31, v248, v251                           // 00000000BD58: D1FF00F8 07EFF11F
	v_cndmask_b32_e64 v29, v248, v250, s[74:75]                // 00000000BD60: D100001D 012BF5F8
	v_and_or_b32 v180, v29, v249, v28                          // 00000000BD68: D20100B4 0473F31D
	v_mov_b32_e32 v30, v210                                    // 00000000BD70: 7E3C03D2
	v_mov_b32_e32 v31, v211                                    // 00000000BD74: 7E3E03D3
	v_cmp_u_f32_e64 s[74:75], v30, v30                         // 00000000BD78: D048004A 00023D1E
	v_bfe_u32 v248, v30, 16, 1                                 // 00000000BD80: D1C800F8 0205211E
	v_add3_u32 v248, v30, v248, v251                           // 00000000BD88: D1FF00F8 07EFF11E
	v_cndmask_b32_e64 v28, v248, v250, s[74:75]                // 00000000BD90: D100001C 012BF5F8
	v_lshrrev_b32_e32 v28, 16, v28                             // 00000000BD98: 20383890
	v_cmp_u_f32_e64 s[74:75], v31, v31                         // 00000000BD9C: D048004A 00023F1F
	v_bfe_u32 v248, v31, 16, 1                                 // 00000000BDA4: D1C800F8 0205211F
	v_add3_u32 v248, v31, v248, v251                           // 00000000BDAC: D1FF00F8 07EFF11F
	v_cndmask_b32_e64 v29, v248, v250, s[74:75]                // 00000000BDB4: D100001D 012BF5F8
	v_and_or_b32 v181, v29, v249, v28                          // 00000000BDBC: D20100B5 0473F31D
	v_mov_b32_e32 v30, v212                                    // 00000000BDC4: 7E3C03D4
	v_mov_b32_e32 v31, v213                                    // 00000000BDC8: 7E3E03D5
	v_cmp_u_f32_e64 s[74:75], v30, v30                         // 00000000BDCC: D048004A 00023D1E
	v_bfe_u32 v248, v30, 16, 1                                 // 00000000BDD4: D1C800F8 0205211E
	v_add3_u32 v248, v30, v248, v251                           // 00000000BDDC: D1FF00F8 07EFF11E
	v_cndmask_b32_e64 v28, v248, v250, s[74:75]                // 00000000BDE4: D100001C 012BF5F8
	v_lshrrev_b32_e32 v28, 16, v28                             // 00000000BDEC: 20383890
	v_cmp_u_f32_e64 s[74:75], v31, v31                         // 00000000BDF0: D048004A 00023F1F
	v_bfe_u32 v248, v31, 16, 1                                 // 00000000BDF8: D1C800F8 0205211F
	v_add3_u32 v248, v31, v248, v251                           // 00000000BE00: D1FF00F8 07EFF11F
	v_cndmask_b32_e64 v29, v248, v250, s[74:75]                // 00000000BE08: D100001D 012BF5F8
	v_and_or_b32 v182, v29, v249, v28                          // 00000000BE10: D20100B6 0473F31D
	v_mov_b32_e32 v30, v214                                    // 00000000BE18: 7E3C03D6
	v_mov_b32_e32 v31, v215                                    // 00000000BE1C: 7E3E03D7
	v_cmp_u_f32_e64 s[74:75], v30, v30                         // 00000000BE20: D048004A 00023D1E
	v_bfe_u32 v248, v30, 16, 1                                 // 00000000BE28: D1C800F8 0205211E
	v_add3_u32 v248, v30, v248, v251                           // 00000000BE30: D1FF00F8 07EFF11E
	v_cndmask_b32_e64 v28, v248, v250, s[74:75]                // 00000000BE38: D100001C 012BF5F8
	v_lshrrev_b32_e32 v28, 16, v28                             // 00000000BE40: 20383890
	v_cmp_u_f32_e64 s[74:75], v31, v31                         // 00000000BE44: D048004A 00023F1F
	v_bfe_u32 v248, v31, 16, 1                                 // 00000000BE4C: D1C800F8 0205211F
	v_add3_u32 v248, v31, v248, v251                           // 00000000BE54: D1FF00F8 07EFF11F
	v_cndmask_b32_e64 v29, v248, v250, s[74:75]                // 00000000BE5C: D100001D 012BF5F8
	v_and_or_b32 v183, v29, v249, v28                          // 00000000BE64: D20100B7 0473F31D
	ds_write_b64 v25, v[168:169] offset:16896                  // 00000000BE6C: D89A4200 0000A819
	ds_write_b64 v25, v[170:171] offset:17424                  // 00000000BE74: D89A4410 0000AA19
	ds_write_b64 v25, v[172:173] offset:17952                  // 00000000BE7C: D89A4620 0000AC19
	ds_write_b64 v25, v[174:175] offset:18480                  // 00000000BE84: D89A4830 0000AE19
	ds_write_b64 v25, v[176:177] offset:19008                  // 00000000BE8C: D89A4A40 0000B019
	ds_write_b64 v25, v[178:179] offset:19536                  // 00000000BE94: D89A4C50 0000B219
	ds_write_b64 v25, v[180:181] offset:20064                  // 00000000BE9C: D89A4E60 0000B419
	ds_write_b64 v25, v[182:183] offset:20592                  // 00000000BEA4: D89A5070 0000B619
	s_waitcnt lgkmcnt(0)                                       // 00000000BEAC: BF8CC07F
	s_barrier                                                  // 00000000BEB0: BF8A0000
	ds_read_b64 v[168:169], v24 offset:16896                   // 00000000BEB4: D8EC4200 A8000018
	ds_read_b64 v[170:171], v24 offset:17024                   // 00000000BEBC: D8EC4280 AA000018
	ds_read_b64 v[172:173], v24 offset:16928                   // 00000000BEC4: D8EC4220 AC000018
	ds_read_b64 v[174:175], v24 offset:17056                   // 00000000BECC: D8EC42A0 AE000018
	ds_read_b64 v[176:177], v24 offset:16960                   // 00000000BED4: D8EC4240 B0000018
	ds_read_b64 v[178:179], v24 offset:17088                   // 00000000BEDC: D8EC42C0 B2000018
	ds_read_b64 v[180:181], v24 offset:16992                   // 00000000BEE4: D8EC4260 B4000018
	ds_read_b64 v[182:183], v24 offset:17120                   // 00000000BEEC: D8EC42E0 B6000018
	s_waitcnt lgkmcnt(0)                                       // 00000000BEF4: BF8CC07F
	s_mov_b32 s70, s53                                         // 00000000BEF8: BEC60035
	s_mov_b64 exec, s[90:91]                                   // 00000000BEFC: BEFE015A
	buffer_store_dwordx4 v[168:171], v6, s[40:43], 0 idxen     // 00000000BF00: E07C2000 800AA806
	s_mov_b64 exec, s[86:87]                                   // 00000000BF08: BEFE0156
	v_add_u32_e32 v6, s70, v6                                  // 00000000BF0C: 680C0C46
	s_mov_b64 exec, s[90:91]                                   // 00000000BF10: BEFE015A
	buffer_store_dwordx4 v[172:175], v6, s[40:43], 0 idxen     // 00000000BF14: E07C2000 800AAC06
	s_mov_b64 exec, s[86:87]                                   // 00000000BF1C: BEFE0156
	v_add_u32_e32 v6, s70, v6                                  // 00000000BF20: 680C0C46
	s_mov_b64 exec, s[90:91]                                   // 00000000BF24: BEFE015A
	buffer_store_dwordx4 v[176:179], v6, s[40:43], 0 idxen     // 00000000BF28: E07C2000 800AB006
	s_mov_b64 exec, s[86:87]                                   // 00000000BF30: BEFE0156
	v_add_u32_e32 v6, s70, v6                                  // 00000000BF34: 680C0C46
	s_mov_b64 exec, s[90:91]                                   // 00000000BF38: BEFE015A
	buffer_store_dwordx4 v[180:183], v6, s[40:43], 0 idxen     // 00000000BF3C: E07C2000 800AB406
	s_mov_b64 exec, s[86:87]                                   // 00000000BF44: BEFE0156
	v_add_u32_e32 v6, s70, v6                                  // 00000000BF48: 680C0C46
	s_mul_i32 s60, 12, s70                                     // 00000000BF4C: 923C468C
	v_add_u32_e32 v6, s60, v6                                  // 00000000BF50: 680C0C3C
	s_cmp_ge_i32 2, s73                                        // 00000000BF54: BF034982
	s_cbranch_scc1 label_21F7                                  // 00000000BF58: BF85018C
	v_mov_b32_e32 v30, v216                                    // 00000000BF5C: 7E3C03D8
	v_mov_b32_e32 v31, v217                                    // 00000000BF60: 7E3E03D9
	v_cmp_u_f32_e64 s[74:75], v30, v30                         // 00000000BF64: D048004A 00023D1E
	v_bfe_u32 v248, v30, 16, 1                                 // 00000000BF6C: D1C800F8 0205211E
	v_add3_u32 v248, v30, v248, v251                           // 00000000BF74: D1FF00F8 07EFF11E
	v_cndmask_b32_e64 v28, v248, v250, s[74:75]                // 00000000BF7C: D100001C 012BF5F8
	v_lshrrev_b32_e32 v28, 16, v28                             // 00000000BF84: 20383890
	v_cmp_u_f32_e64 s[74:75], v31, v31                         // 00000000BF88: D048004A 00023F1F
	v_bfe_u32 v248, v31, 16, 1                                 // 00000000BF90: D1C800F8 0205211F
	v_add3_u32 v248, v31, v248, v251                           // 00000000BF98: D1FF00F8 07EFF11F
	v_cndmask_b32_e64 v29, v248, v250, s[74:75]                // 00000000BFA0: D100001D 012BF5F8
	v_and_or_b32 v184, v29, v249, v28                          // 00000000BFA8: D20100B8 0473F31D
	v_mov_b32_e32 v30, v218                                    // 00000000BFB0: 7E3C03DA
	v_mov_b32_e32 v31, v219                                    // 00000000BFB4: 7E3E03DB
	v_cmp_u_f32_e64 s[74:75], v30, v30                         // 00000000BFB8: D048004A 00023D1E
	v_bfe_u32 v248, v30, 16, 1                                 // 00000000BFC0: D1C800F8 0205211E
	v_add3_u32 v248, v30, v248, v251                           // 00000000BFC8: D1FF00F8 07EFF11E
	v_cndmask_b32_e64 v28, v248, v250, s[74:75]                // 00000000BFD0: D100001C 012BF5F8
	v_lshrrev_b32_e32 v28, 16, v28                             // 00000000BFD8: 20383890
	v_cmp_u_f32_e64 s[74:75], v31, v31                         // 00000000BFDC: D048004A 00023F1F
	v_bfe_u32 v248, v31, 16, 1                                 // 00000000BFE4: D1C800F8 0205211F
	v_add3_u32 v248, v31, v248, v251                           // 00000000BFEC: D1FF00F8 07EFF11F
	v_cndmask_b32_e64 v29, v248, v250, s[74:75]                // 00000000BFF4: D100001D 012BF5F8
	v_and_or_b32 v185, v29, v249, v28                          // 00000000BFFC: D20100B9 0473F31D
	v_mov_b32_e32 v30, v220                                    // 00000000C004: 7E3C03DC
	v_mov_b32_e32 v31, v221                                    // 00000000C008: 7E3E03DD
	v_cmp_u_f32_e64 s[74:75], v30, v30                         // 00000000C00C: D048004A 00023D1E
	v_bfe_u32 v248, v30, 16, 1                                 // 00000000C014: D1C800F8 0205211E
	v_add3_u32 v248, v30, v248, v251                           // 00000000C01C: D1FF00F8 07EFF11E
	v_cndmask_b32_e64 v28, v248, v250, s[74:75]                // 00000000C024: D100001C 012BF5F8
	v_lshrrev_b32_e32 v28, 16, v28                             // 00000000C02C: 20383890
	v_cmp_u_f32_e64 s[74:75], v31, v31                         // 00000000C030: D048004A 00023F1F
	v_bfe_u32 v248, v31, 16, 1                                 // 00000000C038: D1C800F8 0205211F
	v_add3_u32 v248, v31, v248, v251                           // 00000000C040: D1FF00F8 07EFF11F
	v_cndmask_b32_e64 v29, v248, v250, s[74:75]                // 00000000C048: D100001D 012BF5F8
	v_and_or_b32 v186, v29, v249, v28                          // 00000000C050: D20100BA 0473F31D
	v_mov_b32_e32 v30, v222                                    // 00000000C058: 7E3C03DE
	v_mov_b32_e32 v31, v223                                    // 00000000C05C: 7E3E03DF
	v_cmp_u_f32_e64 s[74:75], v30, v30                         // 00000000C060: D048004A 00023D1E
	v_bfe_u32 v248, v30, 16, 1                                 // 00000000C068: D1C800F8 0205211E
	v_add3_u32 v248, v30, v248, v251                           // 00000000C070: D1FF00F8 07EFF11E
	v_cndmask_b32_e64 v28, v248, v250, s[74:75]                // 00000000C078: D100001C 012BF5F8
	v_lshrrev_b32_e32 v28, 16, v28                             // 00000000C080: 20383890
	v_cmp_u_f32_e64 s[74:75], v31, v31                         // 00000000C084: D048004A 00023F1F
	v_bfe_u32 v248, v31, 16, 1                                 // 00000000C08C: D1C800F8 0205211F
	v_add3_u32 v248, v31, v248, v251                           // 00000000C094: D1FF00F8 07EFF11F
	v_cndmask_b32_e64 v29, v248, v250, s[74:75]                // 00000000C09C: D100001D 012BF5F8
	v_and_or_b32 v187, v29, v249, v28                          // 00000000C0A4: D20100BB 0473F31D
	v_mov_b32_e32 v30, v224                                    // 00000000C0AC: 7E3C03E0
	v_mov_b32_e32 v31, v225                                    // 00000000C0B0: 7E3E03E1
	v_cmp_u_f32_e64 s[74:75], v30, v30                         // 00000000C0B4: D048004A 00023D1E
	v_bfe_u32 v248, v30, 16, 1                                 // 00000000C0BC: D1C800F8 0205211E
	v_add3_u32 v248, v30, v248, v251                           // 00000000C0C4: D1FF00F8 07EFF11E
	v_cndmask_b32_e64 v28, v248, v250, s[74:75]                // 00000000C0CC: D100001C 012BF5F8
	v_lshrrev_b32_e32 v28, 16, v28                             // 00000000C0D4: 20383890
	v_cmp_u_f32_e64 s[74:75], v31, v31                         // 00000000C0D8: D048004A 00023F1F
	v_bfe_u32 v248, v31, 16, 1                                 // 00000000C0E0: D1C800F8 0205211F
	v_add3_u32 v248, v31, v248, v251                           // 00000000C0E8: D1FF00F8 07EFF11F
	v_cndmask_b32_e64 v29, v248, v250, s[74:75]                // 00000000C0F0: D100001D 012BF5F8
	v_and_or_b32 v188, v29, v249, v28                          // 00000000C0F8: D20100BC 0473F31D
	v_mov_b32_e32 v30, v226                                    // 00000000C100: 7E3C03E2
	v_mov_b32_e32 v31, v227                                    // 00000000C104: 7E3E03E3
	v_cmp_u_f32_e64 s[74:75], v30, v30                         // 00000000C108: D048004A 00023D1E
	v_bfe_u32 v248, v30, 16, 1                                 // 00000000C110: D1C800F8 0205211E
	v_add3_u32 v248, v30, v248, v251                           // 00000000C118: D1FF00F8 07EFF11E
	v_cndmask_b32_e64 v28, v248, v250, s[74:75]                // 00000000C120: D100001C 012BF5F8
	v_lshrrev_b32_e32 v28, 16, v28                             // 00000000C128: 20383890
	v_cmp_u_f32_e64 s[74:75], v31, v31                         // 00000000C12C: D048004A 00023F1F
	v_bfe_u32 v248, v31, 16, 1                                 // 00000000C134: D1C800F8 0205211F
	v_add3_u32 v248, v31, v248, v251                           // 00000000C13C: D1FF00F8 07EFF11F
	v_cndmask_b32_e64 v29, v248, v250, s[74:75]                // 00000000C144: D100001D 012BF5F8
	v_and_or_b32 v189, v29, v249, v28                          // 00000000C14C: D20100BD 0473F31D
	v_mov_b32_e32 v30, v228                                    // 00000000C154: 7E3C03E4
	v_mov_b32_e32 v31, v229                                    // 00000000C158: 7E3E03E5
	v_cmp_u_f32_e64 s[74:75], v30, v30                         // 00000000C15C: D048004A 00023D1E
	v_bfe_u32 v248, v30, 16, 1                                 // 00000000C164: D1C800F8 0205211E
	v_add3_u32 v248, v30, v248, v251                           // 00000000C16C: D1FF00F8 07EFF11E
	v_cndmask_b32_e64 v28, v248, v250, s[74:75]                // 00000000C174: D100001C 012BF5F8
	v_lshrrev_b32_e32 v28, 16, v28                             // 00000000C17C: 20383890
	v_cmp_u_f32_e64 s[74:75], v31, v31                         // 00000000C180: D048004A 00023F1F
	v_bfe_u32 v248, v31, 16, 1                                 // 00000000C188: D1C800F8 0205211F
	v_add3_u32 v248, v31, v248, v251                           // 00000000C190: D1FF00F8 07EFF11F
	v_cndmask_b32_e64 v29, v248, v250, s[74:75]                // 00000000C198: D100001D 012BF5F8
	v_and_or_b32 v190, v29, v249, v28                          // 00000000C1A0: D20100BE 0473F31D
	v_mov_b32_e32 v30, v230                                    // 00000000C1A8: 7E3C03E6
	v_mov_b32_e32 v31, v231                                    // 00000000C1AC: 7E3E03E7
	v_cmp_u_f32_e64 s[74:75], v30, v30                         // 00000000C1B0: D048004A 00023D1E
	v_bfe_u32 v248, v30, 16, 1                                 // 00000000C1B8: D1C800F8 0205211E
	v_add3_u32 v248, v30, v248, v251                           // 00000000C1C0: D1FF00F8 07EFF11E
	v_cndmask_b32_e64 v28, v248, v250, s[74:75]                // 00000000C1C8: D100001C 012BF5F8
	v_lshrrev_b32_e32 v28, 16, v28                             // 00000000C1D0: 20383890
	v_cmp_u_f32_e64 s[74:75], v31, v31                         // 00000000C1D4: D048004A 00023F1F
	v_bfe_u32 v248, v31, 16, 1                                 // 00000000C1DC: D1C800F8 0205211F
	v_add3_u32 v248, v31, v248, v251                           // 00000000C1E4: D1FF00F8 07EFF11F
	v_cndmask_b32_e64 v29, v248, v250, s[74:75]                // 00000000C1EC: D100001D 012BF5F8
	v_and_or_b32 v191, v29, v249, v28                          // 00000000C1F4: D20100BF 0473F31D
	v_mov_b32_e32 v30, v232                                    // 00000000C1FC: 7E3C03E8
	v_mov_b32_e32 v31, v233                                    // 00000000C200: 7E3E03E9
	v_cmp_u_f32_e64 s[74:75], v30, v30                         // 00000000C204: D048004A 00023D1E
	v_bfe_u32 v248, v30, 16, 1                                 // 00000000C20C: D1C800F8 0205211E
	v_add3_u32 v248, v30, v248, v251                           // 00000000C214: D1FF00F8 07EFF11E
	v_cndmask_b32_e64 v28, v248, v250, s[74:75]                // 00000000C21C: D100001C 012BF5F8
	v_lshrrev_b32_e32 v28, 16, v28                             // 00000000C224: 20383890
	v_cmp_u_f32_e64 s[74:75], v31, v31                         // 00000000C228: D048004A 00023F1F
	v_bfe_u32 v248, v31, 16, 1                                 // 00000000C230: D1C800F8 0205211F
	v_add3_u32 v248, v31, v248, v251                           // 00000000C238: D1FF00F8 07EFF11F
	v_cndmask_b32_e64 v29, v248, v250, s[74:75]                // 00000000C240: D100001D 012BF5F8
	v_and_or_b32 v192, v29, v249, v28                          // 00000000C248: D20100C0 0473F31D
	v_mov_b32_e32 v30, v234                                    // 00000000C250: 7E3C03EA
	v_mov_b32_e32 v31, v235                                    // 00000000C254: 7E3E03EB
	v_cmp_u_f32_e64 s[74:75], v30, v30                         // 00000000C258: D048004A 00023D1E
	v_bfe_u32 v248, v30, 16, 1                                 // 00000000C260: D1C800F8 0205211E
	v_add3_u32 v248, v30, v248, v251                           // 00000000C268: D1FF00F8 07EFF11E
	v_cndmask_b32_e64 v28, v248, v250, s[74:75]                // 00000000C270: D100001C 012BF5F8
	v_lshrrev_b32_e32 v28, 16, v28                             // 00000000C278: 20383890
	v_cmp_u_f32_e64 s[74:75], v31, v31                         // 00000000C27C: D048004A 00023F1F
	v_bfe_u32 v248, v31, 16, 1                                 // 00000000C284: D1C800F8 0205211F
	v_add3_u32 v248, v31, v248, v251                           // 00000000C28C: D1FF00F8 07EFF11F
	v_cndmask_b32_e64 v29, v248, v250, s[74:75]                // 00000000C294: D100001D 012BF5F8
	v_and_or_b32 v193, v29, v249, v28                          // 00000000C29C: D20100C1 0473F31D
	v_mov_b32_e32 v30, v236                                    // 00000000C2A4: 7E3C03EC
	v_mov_b32_e32 v31, v237                                    // 00000000C2A8: 7E3E03ED
	v_cmp_u_f32_e64 s[74:75], v30, v30                         // 00000000C2AC: D048004A 00023D1E
	v_bfe_u32 v248, v30, 16, 1                                 // 00000000C2B4: D1C800F8 0205211E
	v_add3_u32 v248, v30, v248, v251                           // 00000000C2BC: D1FF00F8 07EFF11E
	v_cndmask_b32_e64 v28, v248, v250, s[74:75]                // 00000000C2C4: D100001C 012BF5F8
	v_lshrrev_b32_e32 v28, 16, v28                             // 00000000C2CC: 20383890
	v_cmp_u_f32_e64 s[74:75], v31, v31                         // 00000000C2D0: D048004A 00023F1F
	v_bfe_u32 v248, v31, 16, 1                                 // 00000000C2D8: D1C800F8 0205211F
	v_add3_u32 v248, v31, v248, v251                           // 00000000C2E0: D1FF00F8 07EFF11F
	v_cndmask_b32_e64 v29, v248, v250, s[74:75]                // 00000000C2E8: D100001D 012BF5F8
	v_and_or_b32 v194, v29, v249, v28                          // 00000000C2F0: D20100C2 0473F31D
	v_mov_b32_e32 v30, v238                                    // 00000000C2F8: 7E3C03EE
	v_mov_b32_e32 v31, v239                                    // 00000000C2FC: 7E3E03EF
	v_cmp_u_f32_e64 s[74:75], v30, v30                         // 00000000C300: D048004A 00023D1E
	v_bfe_u32 v248, v30, 16, 1                                 // 00000000C308: D1C800F8 0205211E
	v_add3_u32 v248, v30, v248, v251                           // 00000000C310: D1FF00F8 07EFF11E
	v_cndmask_b32_e64 v28, v248, v250, s[74:75]                // 00000000C318: D100001C 012BF5F8
	v_lshrrev_b32_e32 v28, 16, v28                             // 00000000C320: 20383890
	v_cmp_u_f32_e64 s[74:75], v31, v31                         // 00000000C324: D048004A 00023F1F
	v_bfe_u32 v248, v31, 16, 1                                 // 00000000C32C: D1C800F8 0205211F
	v_add3_u32 v248, v31, v248, v251                           // 00000000C334: D1FF00F8 07EFF11F
	v_cndmask_b32_e64 v29, v248, v250, s[74:75]                // 00000000C33C: D100001D 012BF5F8
	v_and_or_b32 v195, v29, v249, v28                          // 00000000C344: D20100C3 0473F31D
	v_mov_b32_e32 v30, v240                                    // 00000000C34C: 7E3C03F0
	v_mov_b32_e32 v31, v241                                    // 00000000C350: 7E3E03F1
	v_cmp_u_f32_e64 s[74:75], v30, v30                         // 00000000C354: D048004A 00023D1E
	v_bfe_u32 v248, v30, 16, 1                                 // 00000000C35C: D1C800F8 0205211E
	v_add3_u32 v248, v30, v248, v251                           // 00000000C364: D1FF00F8 07EFF11E
	v_cndmask_b32_e64 v28, v248, v250, s[74:75]                // 00000000C36C: D100001C 012BF5F8
	v_lshrrev_b32_e32 v28, 16, v28                             // 00000000C374: 20383890
	v_cmp_u_f32_e64 s[74:75], v31, v31                         // 00000000C378: D048004A 00023F1F
	v_bfe_u32 v248, v31, 16, 1                                 // 00000000C380: D1C800F8 0205211F
	v_add3_u32 v248, v31, v248, v251                           // 00000000C388: D1FF00F8 07EFF11F
	v_cndmask_b32_e64 v29, v248, v250, s[74:75]                // 00000000C390: D100001D 012BF5F8
	v_and_or_b32 v196, v29, v249, v28                          // 00000000C398: D20100C4 0473F31D
	v_mov_b32_e32 v30, v242                                    // 00000000C3A0: 7E3C03F2
	v_mov_b32_e32 v31, v243                                    // 00000000C3A4: 7E3E03F3
	v_cmp_u_f32_e64 s[74:75], v30, v30                         // 00000000C3A8: D048004A 00023D1E
	v_bfe_u32 v248, v30, 16, 1                                 // 00000000C3B0: D1C800F8 0205211E
	v_add3_u32 v248, v30, v248, v251                           // 00000000C3B8: D1FF00F8 07EFF11E
	v_cndmask_b32_e64 v28, v248, v250, s[74:75]                // 00000000C3C0: D100001C 012BF5F8
	v_lshrrev_b32_e32 v28, 16, v28                             // 00000000C3C8: 20383890
	v_cmp_u_f32_e64 s[74:75], v31, v31                         // 00000000C3CC: D048004A 00023F1F
	v_bfe_u32 v248, v31, 16, 1                                 // 00000000C3D4: D1C800F8 0205211F
	v_add3_u32 v248, v31, v248, v251                           // 00000000C3DC: D1FF00F8 07EFF11F
	v_cndmask_b32_e64 v29, v248, v250, s[74:75]                // 00000000C3E4: D100001D 012BF5F8
	v_and_or_b32 v197, v29, v249, v28                          // 00000000C3EC: D20100C5 0473F31D
	v_mov_b32_e32 v30, v244                                    // 00000000C3F4: 7E3C03F4
	v_mov_b32_e32 v31, v245                                    // 00000000C3F8: 7E3E03F5
	v_cmp_u_f32_e64 s[74:75], v30, v30                         // 00000000C3FC: D048004A 00023D1E
	v_bfe_u32 v248, v30, 16, 1                                 // 00000000C404: D1C800F8 0205211E
	v_add3_u32 v248, v30, v248, v251                           // 00000000C40C: D1FF00F8 07EFF11E
	v_cndmask_b32_e64 v28, v248, v250, s[74:75]                // 00000000C414: D100001C 012BF5F8
	v_lshrrev_b32_e32 v28, 16, v28                             // 00000000C41C: 20383890
	v_cmp_u_f32_e64 s[74:75], v31, v31                         // 00000000C420: D048004A 00023F1F
	v_bfe_u32 v248, v31, 16, 1                                 // 00000000C428: D1C800F8 0205211F
	v_add3_u32 v248, v31, v248, v251                           // 00000000C430: D1FF00F8 07EFF11F
	v_cndmask_b32_e64 v29, v248, v250, s[74:75]                // 00000000C438: D100001D 012BF5F8
	v_and_or_b32 v198, v29, v249, v28                          // 00000000C440: D20100C6 0473F31D
	v_mov_b32_e32 v30, v246                                    // 00000000C448: 7E3C03F6
	v_mov_b32_e32 v31, v247                                    // 00000000C44C: 7E3E03F7
	v_cmp_u_f32_e64 s[74:75], v30, v30                         // 00000000C450: D048004A 00023D1E
	v_bfe_u32 v248, v30, 16, 1                                 // 00000000C458: D1C800F8 0205211E
	v_add3_u32 v248, v30, v248, v251                           // 00000000C460: D1FF00F8 07EFF11E
	v_cndmask_b32_e64 v28, v248, v250, s[74:75]                // 00000000C468: D100001C 012BF5F8
	v_lshrrev_b32_e32 v28, 16, v28                             // 00000000C470: 20383890
	v_cmp_u_f32_e64 s[74:75], v31, v31                         // 00000000C474: D048004A 00023F1F
	v_bfe_u32 v248, v31, 16, 1                                 // 00000000C47C: D1C800F8 0205211F
	v_add3_u32 v248, v31, v248, v251                           // 00000000C484: D1FF00F8 07EFF11F
	v_cndmask_b32_e64 v29, v248, v250, s[74:75]                // 00000000C48C: D100001D 012BF5F8
	v_and_or_b32 v199, v29, v249, v28                          // 00000000C494: D20100C7 0473F31D
	ds_write_b64 v25, v[184:185] offset:33792                  // 00000000C49C: D89A8400 0000B819
	ds_write_b64 v25, v[186:187] offset:34320                  // 00000000C4A4: D89A8610 0000BA19
	ds_write_b64 v25, v[188:189] offset:34848                  // 00000000C4AC: D89A8820 0000BC19
	ds_write_b64 v25, v[190:191] offset:35376                  // 00000000C4B4: D89A8A30 0000BE19
	ds_write_b64 v25, v[192:193] offset:35904                  // 00000000C4BC: D89A8C40 0000C019
	ds_write_b64 v25, v[194:195] offset:36432                  // 00000000C4C4: D89A8E50 0000C219
	ds_write_b64 v25, v[196:197] offset:36960                  // 00000000C4CC: D89A9060 0000C419
	ds_write_b64 v25, v[198:199] offset:37488                  // 00000000C4D4: D89A9270 0000C619
	s_waitcnt lgkmcnt(0)                                       // 00000000C4DC: BF8CC07F
	s_barrier                                                  // 00000000C4E0: BF8A0000
	ds_read_b64 v[184:185], v24 offset:33792                   // 00000000C4E4: D8EC8400 B8000018
	ds_read_b64 v[186:187], v24 offset:33920                   // 00000000C4EC: D8EC8480 BA000018
	ds_read_b64 v[188:189], v24 offset:33824                   // 00000000C4F4: D8EC8420 BC000018
	ds_read_b64 v[190:191], v24 offset:33952                   // 00000000C4FC: D8EC84A0 BE000018
	ds_read_b64 v[192:193], v24 offset:33856                   // 00000000C504: D8EC8440 C0000018
	ds_read_b64 v[194:195], v24 offset:33984                   // 00000000C50C: D8EC84C0 C2000018
	ds_read_b64 v[196:197], v24 offset:33888                   // 00000000C514: D8EC8460 C4000018
	ds_read_b64 v[198:199], v24 offset:34016                   // 00000000C51C: D8EC84E0 C6000018
	s_waitcnt lgkmcnt(0)                                       // 00000000C524: BF8CC07F
	s_mov_b32 s70, s53                                         // 00000000C528: BEC60035
	s_mov_b64 exec, s[90:91]                                   // 00000000C52C: BEFE015A
	buffer_store_dwordx4 v[184:187], v6, s[40:43], 0 idxen     // 00000000C530: E07C2000 800AB806
	s_mov_b64 exec, s[86:87]                                   // 00000000C538: BEFE0156
	v_add_u32_e32 v6, s70, v6                                  // 00000000C53C: 680C0C46
	s_mov_b64 exec, s[90:91]                                   // 00000000C540: BEFE015A
	buffer_store_dwordx4 v[188:191], v6, s[40:43], 0 idxen     // 00000000C544: E07C2000 800ABC06
	s_mov_b64 exec, s[86:87]                                   // 00000000C54C: BEFE0156
	v_add_u32_e32 v6, s70, v6                                  // 00000000C550: 680C0C46
	s_mov_b64 exec, s[90:91]                                   // 00000000C554: BEFE015A
	buffer_store_dwordx4 v[192:195], v6, s[40:43], 0 idxen     // 00000000C558: E07C2000 800AC006
	s_mov_b64 exec, s[86:87]                                   // 00000000C560: BEFE0156
	v_add_u32_e32 v6, s70, v6                                  // 00000000C564: 680C0C46
	s_mov_b64 exec, s[90:91]                                   // 00000000C568: BEFE015A
	buffer_store_dwordx4 v[196:199], v6, s[40:43], 0 idxen     // 00000000C56C: E07C2000 800AC406
	s_mov_b64 exec, s[86:87]                                   // 00000000C574: BEFE0156
	v_add_u32_e32 v6, s70, v6                                  // 00000000C578: 680C0C46
	s_mul_i32 s60, 12, s70                                     // 00000000C57C: 923C468C
	v_add_u32_e32 v6, s60, v6                                  // 00000000C580: 680C0C3C
	s_cmp_ge_i32 3, s73                                        // 00000000C584: BF034983
	s_cbranch_scc1 label_21F7                                  // 00000000C588: BF850000

000000000000c58c <label_21F7>:
	s_waitcnt vmcnt(0) expcnt(0) lgkmcnt(0)                    // 00000000C58C: BF8C0000
	s_endpgm                                                   // 00000000C590: BF810000
